;; amdgpu-corpus repo=ROCm/rocFFT kind=compiled arch=gfx906 opt=O3
	.text
	.amdgcn_target "amdgcn-amd-amdhsa--gfx906"
	.amdhsa_code_object_version 6
	.protected	bluestein_single_back_len1188_dim1_half_op_CI_CI ; -- Begin function bluestein_single_back_len1188_dim1_half_op_CI_CI
	.globl	bluestein_single_back_len1188_dim1_half_op_CI_CI
	.p2align	8
	.type	bluestein_single_back_len1188_dim1_half_op_CI_CI,@function
bluestein_single_back_len1188_dim1_half_op_CI_CI: ; @bluestein_single_back_len1188_dim1_half_op_CI_CI
; %bb.0:
	v_mul_u32_u24_e32 v1, 0x3e1, v0
	s_load_dwordx4 s[16:19], s[4:5], 0x28
	v_lshrrev_b32_e32 v1, 16, v1
	v_mad_u64_u32 v[16:17], s[0:1], s6, 3, v[1:2]
	v_mov_b32_e32 v17, 0
	s_waitcnt lgkmcnt(0)
	v_cmp_gt_u64_e32 vcc, s[16:17], v[16:17]
	s_and_saveexec_b64 s[0:1], vcc
	s_cbranch_execz .LBB0_10
; %bb.1:
	s_load_dwordx4 s[12:15], s[4:5], 0x18
	s_load_dwordx4 s[8:11], s[4:5], 0x0
	v_mul_lo_u16_e32 v1, 0x42, v1
	v_sub_u16_e32 v82, v0, v1
	v_lshlrev_b32_e32 v46, 2, v82
	s_waitcnt lgkmcnt(0)
	s_load_dwordx4 s[0:3], s[12:13], 0x0
	global_load_dword v83, v46, s[8:9]
	v_mov_b32_e32 v8, s9
	s_movk_i32 s16, 0x42
                                        ; implicit-def: $vgpr58
                                        ; implicit-def: $vgpr57
                                        ; implicit-def: $vgpr59
                                        ; implicit-def: $vgpr64
                                        ; implicit-def: $vgpr88
                                        ; implicit-def: $vgpr42
                                        ; implicit-def: $vgpr39
	s_waitcnt lgkmcnt(0)
	v_mad_u64_u32 v[0:1], s[6:7], s2, v16, 0
	v_mad_u64_u32 v[2:3], s[6:7], s0, v82, 0
	s_mul_hi_u32 s12, s0, 0x318
	s_mul_i32 s13, s0, 0x318
	v_mad_u64_u32 v[4:5], s[2:3], s3, v16, v[1:2]
	v_mad_u64_u32 v[5:6], s[2:3], s1, v82, v[3:4]
	v_mov_b32_e32 v1, v4
	v_lshlrev_b64 v[0:1], 2, v[0:1]
	v_mov_b32_e32 v6, s19
	v_mov_b32_e32 v3, v5
	v_add_co_u32_e32 v4, vcc, s18, v0
	v_addc_co_u32_e32 v5, vcc, v6, v1, vcc
	v_lshlrev_b64 v[0:1], 2, v[2:3]
	s_mul_i32 s2, s1, 0x318
	v_add_co_u32_e32 v0, vcc, v4, v0
	v_addc_co_u32_e32 v1, vcc, v5, v1, vcc
	s_add_i32 s12, s12, s2
	global_load_dword v2, v[0:1], off
	v_mov_b32_e32 v3, s12
	v_add_co_u32_e32 v0, vcc, s13, v0
	v_addc_co_u32_e32 v1, vcc, v1, v3, vcc
	global_load_dword v3, v[0:1], off
	global_load_dword v81, v46, s[8:9] offset:792
	v_mov_b32_e32 v4, s12
	v_add_co_u32_e32 v0, vcc, s13, v0
	v_addc_co_u32_e32 v1, vcc, v1, v4, vcc
	global_load_dword v4, v[0:1], off
	global_load_dword v80, v46, s[8:9] offset:1584
	;; [unrolled: 5-line block ×4, first 2 shown]
	s_mov_b32 s2, 0xaaaaaaab
	v_mul_hi_u32 v7, v16, s2
	v_add_co_u32_e32 v9, vcc, s8, v46
	v_addc_co_u32_e32 v8, vcc, 0, v8, vcc
	v_lshrrev_b32_e32 v7, 1, v7
	v_lshl_add_u32 v7, v7, 1, v7
	v_sub_u32_e32 v7, v16, v7
	v_mul_u32_u24_e32 v48, 0x4a4, v7
	v_mov_b32_e32 v7, s12
	v_add_co_u32_e32 v0, vcc, s13, v0
	v_addc_co_u32_e32 v1, vcc, v1, v7, vcc
	s_load_dwordx2 s[2:3], s[4:5], 0x38
	v_lshlrev_b32_e32 v85, 2, v48
	s_load_dwordx4 s[4:7], s[14:15], 0x0
	global_load_dword v77, v46, s[8:9] offset:3960
	global_load_dword v76, v46, s[8:9] offset:264
	;; [unrolled: 1-line block ×6, first 2 shown]
	global_load_dword v7, v[0:1], off
	v_add_u32_e32 v84, v46, v85
	s_mulk_i32 s1, 0xf190
	v_add_u32_e32 v25, 0x800, v84
	v_add_u32_e32 v26, 0xc00, v84
	s_waitcnt vmcnt(15)
	v_lshrrev_b32_e32 v10, 16, v2
	v_mul_f16_sdwa v11, v83, v2 dst_sel:DWORD dst_unused:UNUSED_PAD src0_sel:WORD_1 src1_sel:DWORD
	v_mul_f16_sdwa v12, v83, v10 dst_sel:DWORD dst_unused:UNUSED_PAD src0_sel:WORD_1 src1_sel:DWORD
	v_fma_f16 v10, v83, v10, -v11
	v_fma_f16 v2, v83, v2, v12
	s_waitcnt vmcnt(14)
	v_lshrrev_b32_e32 v11, 16, v3
	s_waitcnt vmcnt(13)
	v_mul_f16_sdwa v13, v81, v3 dst_sel:DWORD dst_unused:UNUSED_PAD src0_sel:WORD_1 src1_sel:DWORD
	v_mul_f16_sdwa v12, v81, v11 dst_sel:DWORD dst_unused:UNUSED_PAD src0_sel:WORD_1 src1_sel:DWORD
	v_fma_f16 v11, v81, v11, -v13
	v_pack_b32_f16 v10, v2, v10
	v_fma_f16 v2, v81, v3, v12
	s_waitcnt vmcnt(12)
	v_lshrrev_b32_e32 v13, 16, v4
	s_waitcnt vmcnt(11)
	v_mul_f16_sdwa v14, v80, v4 dst_sel:DWORD dst_unused:UNUSED_PAD src0_sel:WORD_1 src1_sel:DWORD
	v_mul_f16_sdwa v3, v80, v13 dst_sel:DWORD dst_unused:UNUSED_PAD src0_sel:WORD_1 src1_sel:DWORD
	v_fma_f16 v12, v80, v13, -v14
	v_pack_b32_f16 v2, v2, v11
	v_fma_f16 v3, v80, v4, v3
	ds_write_b32 v84, v2 offset:792
	v_pack_b32_f16 v2, v3, v12
	ds_write_b32 v84, v2 offset:1584
	s_waitcnt vmcnt(10)
	v_lshrrev_b32_e32 v2, 16, v5
	s_waitcnt vmcnt(9)
	v_mul_f16_sdwa v3, v79, v2 dst_sel:DWORD dst_unused:UNUSED_PAD src0_sel:WORD_1 src1_sel:DWORD
	v_fma_f16 v3, v79, v5, v3
	v_mul_f16_sdwa v4, v79, v5 dst_sel:DWORD dst_unused:UNUSED_PAD src0_sel:WORD_1 src1_sel:DWORD
	v_mov_b32_e32 v5, 0xfffff190
	v_mad_u64_u32 v[0:1], s[14:15], s0, v5, v[0:1]
	s_sub_i32 s14, s1, s0
	v_fma_f16 v2, v79, v2, -v4
	v_add_u32_e32 v1, s14, v1
	global_load_dword v73, v46, s[8:9] offset:2640
	global_load_dword v72, v46, s[8:9] offset:3432
	global_load_dword v66, v46, s[8:9] offset:3696
	global_load_dword v67, v46, s[8:9] offset:2904
	global_load_dword v68, v46, s[8:9] offset:2112
	v_pack_b32_f16 v2, v3, v2
	s_waitcnt vmcnt(13)
	v_lshrrev_b32_e32 v4, 16, v6
	global_load_dword v12, v[0:1], off
	ds_write_b32 v84, v2 offset:2376
	s_waitcnt vmcnt(13)
	v_mul_f16_sdwa v2, v78, v4 dst_sel:DWORD dst_unused:UNUSED_PAD src0_sel:WORD_1 src1_sel:DWORD
	v_fma_f16 v11, v78, v6, v2
	v_mov_b32_e32 v2, s12
	v_add_co_u32_e32 v0, vcc, s13, v0
	v_addc_co_u32_e32 v1, vcc, v1, v2, vcc
	global_load_dword v13, v[0:1], off
	v_add_co_u32_e32 v0, vcc, s13, v0
	v_addc_co_u32_e32 v1, vcc, v1, v2, vcc
	global_load_dword v14, v[0:1], off
	;; [unrolled: 3-line block ×4, first 2 shown]
	v_add_co_u32_e32 v0, vcc, s13, v0
	v_addc_co_u32_e32 v1, vcc, v1, v2, vcc
	s_movk_i32 s1, 0x1000
	global_load_dword v18, v[0:1], off
	v_add_co_u32_e32 v2, vcc, s1, v9
	v_mad_u64_u32 v[0:1], s[0:1], s0, v5, v[0:1]
	v_addc_co_u32_e32 v3, vcc, 0, v8, vcc
	global_load_dword v71, v[2:3], off offset:128
	v_mul_f16_sdwa v5, v78, v6 dst_sel:DWORD dst_unused:UNUSED_PAD src0_sel:WORD_1 src1_sel:DWORD
	v_add_u32_e32 v1, s14, v1
	v_fma_f16 v4, v78, v4, -v5
	global_load_dword v5, v[0:1], off
	v_pack_b32_f16 v4, v11, v4
	ds_write_b32 v84, v4 offset:3168
	v_mov_b32_e32 v4, s12
	v_add_co_u32_e32 v0, vcc, s13, v0
	v_addc_co_u32_e32 v1, vcc, v1, v4, vcc
	global_load_dword v4, v[0:1], off
	v_mov_b32_e32 v9, s12
	v_add_co_u32_e32 v0, vcc, s13, v0
	v_addc_co_u32_e32 v1, vcc, v1, v9, vcc
	global_load_dword v9, v[0:1], off
	v_mov_b32_e32 v11, s12
	v_add_co_u32_e32 v0, vcc, s13, v0
	s_waitcnt vmcnt(15)
	v_lshrrev_b32_e32 v6, 16, v7
	v_addc_co_u32_e32 v1, vcc, v1, v11, vcc
	v_mul_f16_sdwa v8, v77, v6 dst_sel:DWORD dst_unused:UNUSED_PAD src0_sel:WORD_1 src1_sel:DWORD
	global_load_dword v11, v[0:1], off
	v_fma_f16 v8, v77, v7, v8
	v_mul_f16_sdwa v7, v77, v7 dst_sel:DWORD dst_unused:UNUSED_PAD src0_sel:WORD_1 src1_sel:DWORD
	v_fma_f16 v6, v77, v6, -v7
	v_mov_b32_e32 v7, s12
	v_add_co_u32_e32 v0, vcc, s13, v0
	v_addc_co_u32_e32 v1, vcc, v1, v7, vcc
	global_load_dword v7, v[0:1], off
	v_pack_b32_f16 v6, v8, v6
	ds_write_b32 v84, v6 offset:3960
	v_mov_b32_e32 v6, s12
	v_add_co_u32_e32 v0, vcc, s13, v0
	v_addc_co_u32_e32 v1, vcc, v1, v6, vcc
	global_load_dword v6, v[0:1], off
	global_load_dword v65, v[2:3], off offset:392
	s_waitcnt vmcnt(13)
	v_lshrrev_b32_e32 v0, 16, v12
	v_mul_f16_sdwa v1, v76, v0 dst_sel:DWORD dst_unused:UNUSED_PAD src0_sel:WORD_1 src1_sel:DWORD
	v_mul_f16_sdwa v2, v76, v12 dst_sel:DWORD dst_unused:UNUSED_PAD src0_sel:WORD_1 src1_sel:DWORD
	v_fma_f16 v1, v76, v12, v1
	v_fma_f16 v0, v76, v0, -v2
	v_pack_b32_f16 v0, v1, v0
	ds_write2_b32 v84, v10, v0 offset1:66
	s_movk_i32 s0, 0x84
	s_waitcnt vmcnt(12)
	v_lshrrev_b32_e32 v0, 16, v13
	v_mul_f16_sdwa v1, v75, v0 dst_sel:DWORD dst_unused:UNUSED_PAD src0_sel:WORD_1 src1_sel:DWORD
	v_mul_f16_sdwa v2, v75, v13 dst_sel:DWORD dst_unused:UNUSED_PAD src0_sel:WORD_1 src1_sel:DWORD
	v_fma_f16 v1, v75, v13, v1
	v_fma_f16 v0, v75, v0, -v2
	v_pack_b32_f16 v1, v1, v0
	s_waitcnt vmcnt(11)
	v_lshrrev_b32_e32 v0, 16, v14
	v_mul_f16_sdwa v2, v74, v0 dst_sel:DWORD dst_unused:UNUSED_PAD src0_sel:WORD_1 src1_sel:DWORD
	v_mul_f16_sdwa v3, v74, v14 dst_sel:DWORD dst_unused:UNUSED_PAD src0_sel:WORD_1 src1_sel:DWORD
	v_fma_f16 v2, v74, v14, v2
	v_fma_f16 v0, v74, v0, -v3
	v_pack_b32_f16 v2, v2, v0
	;; [unrolled: 7-line block ×4, first 2 shown]
	s_waitcnt vmcnt(8)
	v_lshrrev_b32_e32 v0, 16, v18
	v_add_co_u32_e32 v43, vcc, s0, v82
	s_movk_i32 s0, 0x3aee
	s_waitcnt vmcnt(7)
	v_mul_f16_sdwa v10, v71, v0 dst_sel:DWORD dst_unused:UNUSED_PAD src0_sel:WORD_1 src1_sel:DWORD
	v_mul_f16_sdwa v12, v71, v18 dst_sel:DWORD dst_unused:UNUSED_PAD src0_sel:WORD_1 src1_sel:DWORD
	v_fma_f16 v10, v71, v18, v10
	v_fma_f16 v0, v71, v0, -v12
	v_pack_b32_f16 v10, v10, v0
	s_waitcnt vmcnt(6)
	v_lshrrev_b32_e32 v0, 16, v5
	v_mul_f16_sdwa v12, v70, v0 dst_sel:DWORD dst_unused:UNUSED_PAD src0_sel:WORD_1 src1_sel:DWORD
	v_fma_f16 v12, v70, v5, v12
	v_mul_f16_sdwa v5, v70, v5 dst_sel:DWORD dst_unused:UNUSED_PAD src0_sel:WORD_1 src1_sel:DWORD
	v_fma_f16 v0, v70, v0, -v5
	v_pack_b32_f16 v0, v12, v0
	ds_write_b32 v84, v0 offset:528
	s_waitcnt vmcnt(5)
	v_lshrrev_b32_e32 v0, 16, v4
	v_mul_f16_sdwa v5, v69, v0 dst_sel:DWORD dst_unused:UNUSED_PAD src0_sel:WORD_1 src1_sel:DWORD
	v_fma_f16 v5, v69, v4, v5
	v_mul_f16_sdwa v4, v69, v4 dst_sel:DWORD dst_unused:UNUSED_PAD src0_sel:WORD_1 src1_sel:DWORD
	v_fma_f16 v0, v69, v0, -v4
	v_pack_b32_f16 v4, v5, v0
	v_add_u32_e32 v0, 0x400, v84
	ds_write2_b32 v0, v1, v4 offset0:8 offset1:74
	s_waitcnt vmcnt(4)
	v_lshrrev_b32_e32 v1, 16, v9
	v_mul_f16_sdwa v4, v68, v1 dst_sel:DWORD dst_unused:UNUSED_PAD src0_sel:WORD_1 src1_sel:DWORD
	v_mul_f16_sdwa v5, v68, v9 dst_sel:DWORD dst_unused:UNUSED_PAD src0_sel:WORD_1 src1_sel:DWORD
	v_fma_f16 v4, v68, v9, v4
	v_fma_f16 v1, v68, v1, -v5
	v_pack_b32_f16 v4, v4, v1
	v_add_u32_e32 v1, 0x600, v84
	ds_write2_b32 v1, v2, v4 offset0:78 offset1:144
	s_waitcnt vmcnt(3)
	v_lshrrev_b32_e32 v2, 16, v11
	v_mul_f16_sdwa v4, v67, v2 dst_sel:DWORD dst_unused:UNUSED_PAD src0_sel:WORD_1 src1_sel:DWORD
	v_mul_f16_sdwa v5, v67, v11 dst_sel:DWORD dst_unused:UNUSED_PAD src0_sel:WORD_1 src1_sel:DWORD
	v_fma_f16 v4, v67, v11, v4
	v_fma_f16 v2, v67, v2, -v5
	v_pack_b32_f16 v2, v4, v2
	ds_write2_b32 v25, v3, v2 offset0:148 offset1:214
	s_waitcnt vmcnt(2)
	v_lshrrev_b32_e32 v2, 16, v7
	v_mul_f16_sdwa v3, v66, v2 dst_sel:DWORD dst_unused:UNUSED_PAD src0_sel:WORD_1 src1_sel:DWORD
	v_mul_f16_sdwa v4, v66, v7 dst_sel:DWORD dst_unused:UNUSED_PAD src0_sel:WORD_1 src1_sel:DWORD
	v_fma_f16 v3, v66, v7, v3
	v_fma_f16 v2, v66, v2, -v4
	v_pack_b32_f16 v2, v3, v2
	ds_write2_b32 v26, v8, v2 offset0:90 offset1:156
	s_waitcnt vmcnt(1)
	v_lshrrev_b32_e32 v2, 16, v6
	s_waitcnt vmcnt(0)
	v_mul_f16_sdwa v3, v65, v2 dst_sel:DWORD dst_unused:UNUSED_PAD src0_sel:WORD_1 src1_sel:DWORD
	v_mul_f16_sdwa v4, v65, v6 dst_sel:DWORD dst_unused:UNUSED_PAD src0_sel:WORD_1 src1_sel:DWORD
	v_fma_f16 v3, v65, v6, v3
	v_fma_f16 v2, v65, v2, -v4
	v_pack_b32_f16 v2, v3, v2
	v_add_u32_e32 v12, 0x1000, v84
	ds_write2_b32 v12, v10, v2 offset0:32 offset1:98
	s_waitcnt lgkmcnt(0)
	s_barrier
	ds_read2_b32 v[2:3], v84 offset0:132 offset1:198
	ds_read2_b32 v[4:5], v0 offset0:8 offset1:74
	;; [unrolled: 1-line block ×6, first 2 shown]
	s_mov_b32 s1, 0xffff
	s_waitcnt lgkmcnt(3)
	v_pk_add_f16 v14, v2, v6
	s_waitcnt lgkmcnt(2)
	v_pk_add_f16 v15, v5, v9
	;; [unrolled: 2-line block ×4, first 2 shown]
	v_pk_add_f16 v22, v14, v15
	v_pk_add_f16 v21, v14, v15 neg_lo:[0,1] neg_hi:[0,1]
	v_pk_add_f16 v14, v6, v10
	v_pk_fma_f16 v2, v14, 0.5, v2 op_sel_hi:[1,0,1] neg_lo:[1,0,0] neg_hi:[1,0,0]
	ds_read2_b32 v[14:15], v84 offset1:66
	ds_read2_b32 v[17:18], v0 offset0:140 offset1:206
	ds_read2_b32 v[19:20], v26 offset0:24 offset1:90
	v_pk_add_f16 v6, v6, v10 neg_lo:[0,1] neg_hi:[0,1]
	v_pk_mul_f16 v6, v6, s0 op_sel_hi:[1,0]
	v_pk_add_f16 v10, v2, v6 op_sel:[0,1] op_sel_hi:[1,0]
	v_pk_add_f16 v23, v2, v6 op_sel:[0,1] op_sel_hi:[1,0] neg_lo:[0,1] neg_hi:[0,1]
	v_pk_add_f16 v2, v9, v13
	v_pk_fma_f16 v24, v2, 0.5, v5 op_sel_hi:[1,0,1] neg_lo:[1,0,0] neg_hi:[1,0,0]
	s_waitcnt lgkmcnt(1)
	v_pk_add_f16 v2, v14, v17
	s_waitcnt lgkmcnt(0)
	v_pk_add_f16 v5, v2, v19
	v_pk_add_f16 v2, v3, v7
	;; [unrolled: 1-line block ×4, first 2 shown]
	v_pk_fma_f16 v2, v2, 0.5, v14 op_sel_hi:[1,0,1] neg_lo:[1,0,0] neg_hi:[1,0,0]
	v_pk_add_f16 v14, v7, v11
	v_pk_fma_f16 v3, v14, 0.5, v3 op_sel_hi:[1,0,1] neg_lo:[1,0,0] neg_hi:[1,0,0]
	v_pk_add_f16 v14, v17, v19 neg_lo:[0,1] neg_hi:[0,1]
	v_pk_mul_f16 v14, v14, s0 op_sel_hi:[1,0]
	v_pk_add_f16 v17, v2, v14 op_sel:[0,1] op_sel_hi:[1,0]
	v_pk_add_f16 v14, v2, v14 op_sel:[0,1] op_sel_hi:[1,0] neg_lo:[0,1] neg_hi:[0,1]
	v_pk_add_f16 v2, v7, v11 neg_lo:[0,1] neg_hi:[0,1]
	v_pk_fma_f16 v7, v2, s0, v3 op_sel:[0,0,1] op_sel_hi:[1,0,0]
	v_lshrrev_b32_e32 v11, 16, v7
	v_pk_fma_f16 v19, v2, s0, v3 op_sel:[0,0,1] op_sel_hi:[1,0,0] neg_lo:[1,0,0] neg_hi:[1,0,0]
	v_mul_f16_e32 v2, 0x3aee, v19
	v_mul_f16_e32 v3, 0xbaee, v11
	v_bfi_b32 v7, s1, v7, v19
	s_mov_b32 s12, 0xbaee3aee
	v_fma_f16 v27, v11, 0.5, v2
	v_fma_f16 v11, v19, 0.5, v3
	v_pk_mul_f16 v19, v7, 0.5 op_sel_hi:[1,0]
	v_add_f16_e32 v2, v17, v27
	v_add_f16_sdwa v3, v14, v11 dst_sel:DWORD dst_unused:UNUSED_PAD src0_sel:WORD_1 src1_sel:DWORD
	v_pk_fma_f16 v7, v7, s12, v19 op_sel:[0,0,1] op_sel_hi:[1,1,0] neg_lo:[0,0,1] neg_hi:[0,0,1]
	v_bfi_b32 v19, s1, v14, v17
	v_pack_b32_f16 v3, v2, v3
	v_pk_add_f16 v2, v5, v6
	v_pk_add_f16 v6, v5, v6 neg_lo:[0,1] neg_hi:[0,1]
	v_pk_add_f16 v5, v19, v7
	v_mul_lo_u16_e32 v19, 6, v82
	v_lshl_add_u32 v45, v19, 2, v85
	s_barrier
	ds_write2_b64 v45, v[2:3], v[5:6] offset1:1
	v_pk_add_f16 v2, v9, v13 neg_lo:[0,1] neg_hi:[0,1]
	v_pk_fma_f16 v3, v2, s0, v24 op_sel:[0,0,1] op_sel_hi:[1,0,0]
	v_pk_fma_f16 v2, v2, s0, v24 op_sel:[0,0,1] op_sel_hi:[1,0,0] neg_lo:[1,0,0] neg_hi:[1,0,0]
	v_lshrrev_b32_e32 v5, 16, v3
	v_bfi_b32 v3, s1, v3, v2
	v_pk_mul_f16 v9, v3, 0.5 op_sel_hi:[1,0]
	v_mul_f16_e32 v6, 0x3aee, v2
	v_pk_fma_f16 v9, v3, s12, v9 op_sel:[0,0,1] op_sel_hi:[1,1,0] neg_lo:[0,0,1] neg_hi:[0,0,1]
	v_mul_f16_e32 v3, 0xbaee, v5
	v_fma_f16 v6, v5, 0.5, v6
	v_fma_f16 v13, v2, 0.5, v3
	v_pk_add_f16 v2, v15, v18
	v_sub_f16_sdwa v3, v17, v7 dst_sel:DWORD dst_unused:UNUSED_PAD src0_sel:WORD_1 src1_sel:WORD_1
	v_pack_b32_f16 v7, v11, v7
	v_pk_add_f16 v5, v18, v20
	v_pk_add_f16 v18, v18, v20 neg_lo:[0,1] neg_hi:[0,1]
	v_pk_add_f16 v20, v2, v20
	v_add_f16_e32 v33, v10, v6
	v_sub_f16_e32 v2, v17, v27
	v_sub_f16_e32 v36, v10, v6
	v_pk_add_f16 v6, v14, v7 op_sel:[1,0] op_sel_hi:[0,1] neg_lo:[0,1] neg_hi:[0,1]
	v_add_co_u32_e32 v44, vcc, s16, v82
	v_alignbit_b32 v3, v3, v6, 16
	v_pack_b32_f16 v2, v2, v6
	ds_write_b64 v45, v[2:3] offset:16
	v_mul_u32_u24_e32 v2, 6, v44
	v_lshl_add_u32 v47, v2, 2, v85
	v_pk_add_f16 v2, v4, v8
	v_pk_add_f16 v3, v2, v12
	v_pk_fma_f16 v5, v5, 0.5, v15 op_sel_hi:[1,0,1] neg_lo:[1,0,0] neg_hi:[1,0,0]
	v_pk_add_f16 v2, v8, v12
	v_pk_mul_f16 v6, v18, s0 op_sel_hi:[1,0]
	v_pk_fma_f16 v4, v2, 0.5, v4 op_sel_hi:[1,0,1] neg_lo:[1,0,0] neg_hi:[1,0,0]
	v_pk_add_f16 v7, v5, v6 op_sel:[0,1] op_sel_hi:[1,0]
	v_pk_add_f16 v6, v5, v6 op_sel:[0,1] op_sel_hi:[1,0] neg_lo:[0,1] neg_hi:[0,1]
	v_pk_add_f16 v5, v8, v12 neg_lo:[0,1] neg_hi:[0,1]
	v_pk_fma_f16 v8, v5, s0, v4 op_sel:[0,0,1] op_sel_hi:[1,0,0]
	v_pk_fma_f16 v4, v5, s0, v4 op_sel:[0,0,1] op_sel_hi:[1,0,0] neg_lo:[1,0,0] neg_hi:[1,0,0]
	v_lshrrev_b32_e32 v11, 16, v8
	v_bfi_b32 v5, s1, v8, v4
	v_mul_f16_e32 v8, 0x3aee, v4
	v_fma_f16 v8, v11, 0.5, v8
	v_mul_f16_e32 v11, 0xbaee, v11
	v_fma_f16 v11, v4, 0.5, v11
	v_pk_mul_f16 v4, v5, 0.5 op_sel_hi:[1,0]
	v_bfi_b32 v19, s1, v23, v10
	v_add_f16_sdwa v51, v10, v9 dst_sel:DWORD dst_unused:UNUSED_PAD src0_sel:WORD_1 src1_sel:WORD_1
	v_bfi_b32 v10, s1, v6, v7
	v_add_f16_e32 v12, v7, v8
	v_pk_fma_f16 v14, v5, s12, v4 op_sel:[0,0,1] op_sel_hi:[1,1,0] neg_lo:[0,0,1] neg_hi:[0,0,1]
	v_add_f16_sdwa v15, v6, v11 dst_sel:DWORD dst_unused:UNUSED_PAD src0_sel:WORD_1 src1_sel:DWORD
	v_pk_add_f16 v2, v20, v3
	v_pk_add_f16 v5, v20, v3 neg_lo:[0,1] neg_hi:[0,1]
	v_pk_add_f16 v4, v10, v14
	v_pack_b32_f16 v3, v12, v15
	ds_write2_b64 v47, v[2:3], v[4:5] offset1:1
	v_pack_b32_f16 v2, v11, v14
	v_sub_f16_e32 v8, v7, v8
	v_sub_f16_sdwa v49, v7, v14 dst_sel:DWORD dst_unused:UNUSED_PAD src0_sel:WORD_1 src1_sel:WORD_1
	v_pk_add_f16 v4, v6, v2 op_sel:[1,0] op_sel_hi:[0,1] neg_lo:[0,1] neg_hi:[0,1]
	v_alignbit_b32 v3, v49, v4, 16
	v_pack_b32_f16 v2, v8, v4
	ds_write_b64 v47, v[2:3] offset:16
	v_mul_u32_u24_e32 v2, 6, v43
	v_lshl_add_u32 v52, v2, 2, v85
	v_pack_b32_f16 v2, v13, v9
	v_pk_add_f16 v50, v23, v2 op_sel:[1,0] op_sel_hi:[0,1]
	v_sub_f16_sdwa v54, v23, v13 dst_sel:DWORD dst_unused:UNUSED_PAD src0_sel:WORD_1 src1_sel:DWORD
	v_alignbit_b32 v20, v51, v50, 16
	v_pack_b32_f16 v23, v33, v50
	v_pk_add_f16 v24, v19, v9 neg_lo:[0,1] neg_hi:[0,1]
	ds_write2_b64 v52, v[22:23], v[20:21] offset1:1
	v_pack_b32_f16 v23, v36, v54
	v_add_u32_e32 v2, 0x200, v84
	ds_write_b64 v52, v[23:24] offset:16
	s_waitcnt lgkmcnt(0)
	s_barrier
	ds_read2_b32 v[29:30], v2 offset0:88 offset1:196
	ds_read2_b32 v[27:28], v25 offset0:136 offset1:244
	;; [unrolled: 1-line block ×3, first 2 shown]
	ds_read_b32 v53, v84 offset:4320
	ds_read2_b32 v[37:38], v84 offset1:108
	ds_read2_b32 v[31:32], v1 offset0:48 offset1:156
	v_lshrrev_b32_e32 v23, 16, v4
	v_lshrrev_b32_e32 v34, 16, v50
	v_cmp_gt_u16_e64 s[0:1], 42, v82
	s_and_saveexec_b64 s[12:13], s[0:1]
	s_cbranch_execz .LBB0_3
; %bb.2:
	ds_read2_b32 v[23:24], v84 offset0:66 offset1:174
	ds_read2_b32 v[33:34], v0 offset0:26 offset1:134
	;; [unrolled: 1-line block ×3, first 2 shown]
	v_add_u32_e32 v0, 0xa00, v84
	ds_read2_b32 v[41:42], v0 offset0:74 offset1:182
	v_add_u32_e32 v0, 0xe00, v84
	ds_read2_b32 v[39:40], v0 offset0:34 offset1:142
	ds_read_b32 v64, v84 offset:4584
	s_waitcnt lgkmcnt(5)
	v_lshrrev_b32_e32 v49, 16, v23
	s_waitcnt lgkmcnt(4)
	v_lshrrev_b32_e32 v50, 16, v33
	v_lshrrev_b32_e32 v51, 16, v34
	s_waitcnt lgkmcnt(3)
	v_lshrrev_b32_e32 v54, 16, v36
	s_waitcnt lgkmcnt(2)
	;; [unrolled: 2-line block ×3, first 2 shown]
	v_lshrrev_b32_e32 v57, 16, v39
	v_lshrrev_b32_e32 v59, 16, v40
	s_waitcnt lgkmcnt(0)
	v_lshrrev_b32_e32 v88, 16, v64
	v_mov_b32_e32 v22, v24
	v_mov_b32_e32 v24, v41
	;; [unrolled: 1-line block ×3, first 2 shown]
.LBB0_3:
	s_or_b64 exec, exec, s[12:13]
	s_movk_i32 s12, 0xab
	v_mul_lo_u16_sdwa v0, v82, s12 dst_sel:DWORD dst_unused:UNUSED_PAD src0_sel:BYTE_0 src1_sel:DWORD
	v_lshrrev_b16_e32 v60, 10, v0
	v_mul_lo_u16_e32 v0, 6, v60
	v_sub_u16_e32 v61, v82, v0
	v_mov_b32_e32 v0, 10
	v_mul_u32_u24_sdwa v1, v61, v0 dst_sel:DWORD dst_unused:UNUSED_PAD src0_sel:BYTE_0 src1_sel:DWORD
	v_lshlrev_b32_e32 v35, 2, v1
	v_mul_lo_u16_sdwa v1, v44, s12 dst_sel:DWORD dst_unused:UNUSED_PAD src0_sel:BYTE_0 src1_sel:DWORD
	v_lshrrev_b16_e32 v86, 10, v1
	global_load_dwordx4 v[8:11], v35, s[10:11]
	global_load_dwordx2 v[19:20], v35, s[10:11] offset:32
	v_mul_lo_u16_e32 v1, 6, v86
	v_sub_u16_e32 v87, v44, v1
	v_mul_u32_u24_sdwa v0, v87, v0 dst_sel:DWORD dst_unused:UNUSED_PAD src0_sel:BYTE_0 src1_sel:DWORD
	v_lshlrev_b32_e32 v41, 2, v0
	global_load_dwordx4 v[0:3], v41, s[10:11]
	global_load_dwordx4 v[12:15], v35, s[10:11] offset:16
	global_load_dwordx2 v[17:18], v41, s[10:11] offset:32
	global_load_dwordx4 v[4:7], v41, s[10:11] offset:16
	s_waitcnt lgkmcnt(2)
	v_lshrrev_b32_e32 v56, 16, v53
	s_waitcnt lgkmcnt(1)
	v_lshrrev_b32_e32 v55, 16, v38
	s_movk_i32 s15, 0x36a6
	v_lshrrev_b32_e32 v93, 16, v22
	s_movk_i32 s14, 0x3abb
	s_mov_b32 s16, 0xb08e
	s_mov_b32 s17, 0xb93d
	;; [unrolled: 1-line block ×3, first 2 shown]
	v_mul_u32_u24_e32 v60, 0x42, v60
	v_add_u32_sdwa v60, v60, v61 dst_sel:DWORD dst_unused:UNUSED_PAD src0_sel:DWORD src1_sel:BYTE_0
	s_waitcnt vmcnt(0) lgkmcnt(0)
	s_barrier
	s_mov_b32 s26, 0xb853
	s_mov_b32 s24, 0xbb47
	;; [unrolled: 1-line block ×5, first 2 shown]
	s_movk_i32 s27, 0x3482
	s_movk_i32 s25, 0x3beb
	;; [unrolled: 1-line block ×4, first 2 shown]
	v_mul_f16_sdwa v62, v38, v8 dst_sel:DWORD dst_unused:UNUSED_PAD src0_sel:DWORD src1_sel:WORD_1
	v_mul_f16_sdwa v35, v56, v20 dst_sel:DWORD dst_unused:UNUSED_PAD src0_sel:DWORD src1_sel:WORD_1
	;; [unrolled: 1-line block ×4, first 2 shown]
	v_fma_f16 v124, v53, v20, -v35
	v_fma_f16 v125, v56, v20, v41
	v_fma_f16 v35, v55, v8, v62
	v_fma_f16 v38, v38, v8, -v63
	v_sub_f16_e32 v41, v35, v125
	v_add_f16_e32 v53, v38, v124
	v_sub_f16_e32 v55, v38, v124
	v_add_f16_e32 v126, v37, v38
	v_mul_f16_e32 v38, 0xbb47, v41
	v_mul_f16_sdwa v94, v93, v0 dst_sel:DWORD dst_unused:UNUSED_PAD src0_sel:DWORD src1_sel:WORD_1
	v_add_f16_e32 v56, v35, v125
	v_add_f16_sdwa v127, v37, v35 dst_sel:DWORD dst_unused:UNUSED_PAD src0_sel:WORD_1 src1_sel:DWORD
	v_mul_f16_e32 v35, 0xb853, v41
	v_mul_f16_e32 v91, 0xbbeb, v55
	v_fma_f16 v96, v53, s15, -v38
	v_fma_f16 v38, v53, s15, v38
	v_mul_f16_e32 v62, 0xbbeb, v41
	v_mul_f16_e32 v63, 0xba0c, v41
	;; [unrolled: 1-line block ×7, first 2 shown]
	v_fma_f16 v95, v53, s14, -v35
	v_fma_f16 v35, v53, s14, v35
	v_fma_f16 v102, v56, s16, v91
	v_fma_f16 v103, v56, s16, -v91
	v_add_f16_e32 v91, v37, v38
	v_fma_f16 v38, v22, v0, -v94
	v_mul_f16_sdwa v22, v22, v0 dst_sel:DWORD dst_unused:UNUSED_PAD src0_sel:DWORD src1_sel:WORD_1
	v_fma_f16 v97, v53, s16, -v62
	v_fma_f16 v98, v53, s16, v62
	v_fma_f16 v99, v53, s17, -v63
	v_fma_f16 v100, v53, s17, v63
	;; [unrolled: 2-line block ×3, first 2 shown]
	v_fma_f16 v53, v56, s14, v89
	v_fma_f16 v62, v56, s14, -v89
	v_fma_f16 v89, v56, s15, v90
	v_fma_f16 v90, v56, s15, -v90
	;; [unrolled: 2-line block ×4, first 2 shown]
	v_add_f16_e32 v63, v37, v35
	v_fma_f16 v35, v93, v0, v22
	v_mul_f16_sdwa v22, v33, v1 dst_sel:DWORD dst_unused:UNUSED_PAD src0_sel:DWORD src1_sel:WORD_1
	v_add_f16_e32 v128, v37, v95
	v_add_f16_sdwa v129, v37, v53 dst_sel:DWORD dst_unused:UNUSED_PAD src0_sel:WORD_1 src1_sel:DWORD
	v_add_f16_sdwa v62, v37, v62 dst_sel:DWORD dst_unused:UNUSED_PAD src0_sel:WORD_1 src1_sel:DWORD
	v_add_f16_e32 v122, v37, v96
	v_add_f16_sdwa v118, v37, v89 dst_sel:DWORD dst_unused:UNUSED_PAD src0_sel:WORD_1 src1_sel:DWORD
	v_add_f16_sdwa v89, v37, v90 dst_sel:DWORD dst_unused:UNUSED_PAD src0_sel:WORD_1 src1_sel:DWORD
	v_add_f16_e32 v119, v37, v97
	v_add_f16_sdwa v117, v37, v102 dst_sel:DWORD dst_unused:UNUSED_PAD src0_sel:WORD_1 src1_sel:DWORD
	v_add_f16_e32 v92, v37, v98
	;; [unrolled: 2-line block ×6, first 2 shown]
	v_add_f16_sdwa v99, v37, v55 dst_sel:DWORD dst_unused:UNUSED_PAD src0_sel:WORD_1 src1_sel:DWORD
	v_fma_f16 v37, v50, v1, v22
	v_mul_f16_sdwa v22, v50, v1 dst_sel:DWORD dst_unused:UNUSED_PAD src0_sel:DWORD src1_sel:WORD_1
	v_fma_f16 v41, v33, v1, -v22
	v_mul_f16_sdwa v22, v51, v2 dst_sel:DWORD dst_unused:UNUSED_PAD src0_sel:DWORD src1_sel:WORD_1
	v_fma_f16 v50, v34, v2, -v22
	v_mul_f16_sdwa v22, v34, v2 dst_sel:DWORD dst_unused:UNUSED_PAD src0_sel:DWORD src1_sel:WORD_1
	v_fma_f16 v33, v51, v2, v22
	v_lshrrev_b32_e32 v22, 16, v21
	v_mul_f16_sdwa v34, v22, v3 dst_sel:DWORD dst_unused:UNUSED_PAD src0_sel:DWORD src1_sel:WORD_1
	v_fma_f16 v51, v21, v3, -v34
	v_mul_f16_sdwa v21, v21, v3 dst_sel:DWORD dst_unused:UNUSED_PAD src0_sel:DWORD src1_sel:WORD_1
	v_fma_f16 v34, v22, v3, v21
	v_mul_f16_sdwa v21, v54, v4 dst_sel:DWORD dst_unused:UNUSED_PAD src0_sel:DWORD src1_sel:WORD_1
	v_fma_f16 v53, v36, v4, -v21
	v_mul_f16_sdwa v21, v36, v4 dst_sel:DWORD dst_unused:UNUSED_PAD src0_sel:DWORD src1_sel:WORD_1
	v_fma_f16 v36, v54, v4, v21
	v_lshrrev_b32_e32 v21, 16, v24
	v_mul_f16_sdwa v22, v21, v5 dst_sel:DWORD dst_unused:UNUSED_PAD src0_sel:DWORD src1_sel:WORD_1
	v_fma_f16 v55, v24, v5, -v22
	v_mul_f16_sdwa v22, v24, v5 dst_sel:DWORD dst_unused:UNUSED_PAD src0_sel:DWORD src1_sel:WORD_1
	v_fma_f16 v24, v21, v5, v22
	v_mul_f16_sdwa v21, v58, v6 dst_sel:DWORD dst_unused:UNUSED_PAD src0_sel:DWORD src1_sel:WORD_1
	v_fma_f16 v56, v42, v6, -v21
	v_mul_f16_sdwa v21, v42, v6 dst_sel:DWORD dst_unused:UNUSED_PAD src0_sel:DWORD src1_sel:WORD_1
	v_fma_f16 v42, v58, v6, v21
	v_mul_f16_sdwa v21, v39, v7 dst_sel:DWORD dst_unused:UNUSED_PAD src0_sel:DWORD src1_sel:WORD_1
	v_fma_f16 v54, v57, v7, v21
	v_mul_f16_sdwa v21, v57, v7 dst_sel:DWORD dst_unused:UNUSED_PAD src0_sel:DWORD src1_sel:WORD_1
	v_fma_f16 v57, v39, v7, -v21
	v_mul_f16_sdwa v21, v59, v17 dst_sel:DWORD dst_unused:UNUSED_PAD src0_sel:DWORD src1_sel:WORD_1
	v_fma_f16 v58, v40, v17, -v21
	v_mul_f16_sdwa v21, v40, v17 dst_sel:DWORD dst_unused:UNUSED_PAD src0_sel:DWORD src1_sel:WORD_1
	v_fma_f16 v39, v59, v17, v21
	v_mul_f16_sdwa v21, v88, v18 dst_sel:DWORD dst_unused:UNUSED_PAD src0_sel:DWORD src1_sel:WORD_1
	v_fma_f16 v59, v64, v18, -v21
	v_mul_f16_sdwa v21, v64, v18 dst_sel:DWORD dst_unused:UNUSED_PAD src0_sel:DWORD src1_sel:WORD_1
	v_fma_f16 v40, v88, v18, v21
	v_sub_f16_e32 v103, v35, v40
	v_add_f16_e32 v94, v38, v59
	v_mul_f16_e32 v64, 0xbb47, v103
	v_sub_f16_e32 v110, v37, v39
	v_fma_f16 v21, v94, s15, v64
	v_add_f16_e32 v102, v41, v58
	v_mul_f16_e32 v93, 0xba0c, v110
	v_add_f16_e32 v21, v23, v21
	v_fma_f16 v22, v102, s17, v93
	v_mul_f16_e32 v95, 0xbbeb, v103
	v_add_f16_e32 v21, v22, v21
	v_fma_f16 v22, v94, s16, v95
	v_mul_f16_e32 v96, 0x3482, v110
	v_sub_f16_e32 v114, v33, v54
	v_add_f16_e32 v22, v23, v22
	v_fma_f16 v88, v102, s18, v96
	v_add_f16_e32 v111, v50, v57
	v_mul_f16_e32 v97, 0x3482, v114
	v_add_f16_e32 v22, v88, v22
	v_fma_f16 v88, v111, s18, v97
	v_mul_f16_e32 v104, 0x3b47, v114
	v_sub_f16_e32 v120, v34, v42
	v_add_f16_e32 v21, v88, v21
	v_fma_f16 v88, v111, s15, v104
	v_add_f16_e32 v115, v51, v56
	;; [unrolled: 8-line block ×3, first 2 shown]
	v_mul_f16_e32 v113, 0x3853, v123
	v_add_f16_e32 v88, v88, v22
	v_fma_f16 v22, v121, s14, v113
	v_mul_f16_e32 v116, 0xba0c, v123
	v_add_f16_e32 v22, v22, v21
	v_fma_f16 v21, v121, s17, v116
	v_add_f16_e32 v21, v21, v88
	v_lshrrev_b32_e32 v88, 16, v29
	v_mul_f16_sdwa v130, v29, v9 dst_sel:DWORD dst_unused:UNUSED_PAD src0_sel:DWORD src1_sel:WORD_1
	v_fma_f16 v130, v88, v9, v130
	v_mul_f16_sdwa v88, v88, v9 dst_sel:DWORD dst_unused:UNUSED_PAD src0_sel:DWORD src1_sel:WORD_1
	v_fma_f16 v29, v29, v9, -v88
	v_lshrrev_b32_e32 v88, 16, v30
	v_mul_f16_sdwa v131, v88, v10 dst_sel:DWORD dst_unused:UNUSED_PAD src0_sel:DWORD src1_sel:WORD_1
	v_fma_f16 v131, v30, v10, -v131
	v_mul_f16_sdwa v30, v30, v10 dst_sel:DWORD dst_unused:UNUSED_PAD src0_sel:DWORD src1_sel:WORD_1
	v_fma_f16 v30, v88, v10, v30
	v_lshrrev_b32_e32 v88, 16, v31
	v_mul_f16_sdwa v132, v31, v11 dst_sel:DWORD dst_unused:UNUSED_PAD src0_sel:DWORD src1_sel:WORD_1
	v_fma_f16 v132, v88, v11, v132
	v_mul_f16_sdwa v88, v88, v11 dst_sel:DWORD dst_unused:UNUSED_PAD src0_sel:DWORD src1_sel:WORD_1
	v_fma_f16 v31, v31, v11, -v88
	v_lshrrev_b32_e32 v88, 16, v32
	v_mul_f16_sdwa v133, v88, v12 dst_sel:DWORD dst_unused:UNUSED_PAD src0_sel:DWORD src1_sel:WORD_1
	v_fma_f16 v133, v32, v12, -v133
	v_mul_f16_sdwa v32, v32, v12 dst_sel:DWORD dst_unused:UNUSED_PAD src0_sel:DWORD src1_sel:WORD_1
	v_fma_f16 v32, v88, v12, v32
	;; [unrolled: 10-line block ×4, first 2 shown]
	v_add_f16_e32 v88, v126, v29
	v_add_f16_e32 v88, v88, v131
	v_add_f16_e32 v88, v88, v31
	v_add_f16_e32 v88, v88, v133
	v_add_f16_e32 v88, v88, v27
	v_add_f16_e32 v88, v88, v135
	v_add_f16_e32 v88, v88, v25
	v_add_f16_e32 v88, v88, v137
	v_add_f16_e32 v88, v88, v124
	v_add_f16_e32 v124, v127, v130
	v_add_f16_e32 v124, v124, v30
	v_add_f16_e32 v124, v124, v132
	v_add_f16_e32 v124, v124, v32
	v_add_f16_e32 v124, v124, v134
	v_add_f16_e32 v124, v124, v28
	v_add_f16_e32 v124, v124, v136
	v_add_f16_e32 v124, v124, v26
	v_add_f16_e32 v126, v130, v26
	v_sub_f16_e32 v26, v130, v26
	v_add_f16_e32 v124, v124, v125
	v_add_f16_e32 v125, v29, v137
	v_mul_f16_e32 v127, 0xbb47, v26
	v_sub_f16_e32 v29, v29, v137
	v_fma_f16 v130, v125, s15, -v127
	v_add_f16_e32 v128, v130, v128
	v_mul_f16_e32 v130, 0xbb47, v29
	v_fma_f16 v137, v126, s15, v130
	v_add_f16_e32 v129, v137, v129
	v_add_f16_e32 v137, v131, v25
	v_sub_f16_e32 v25, v131, v25
	v_add_f16_e32 v131, v30, v136
	v_sub_f16_e32 v30, v30, v136
	v_mul_f16_e32 v136, 0xbbeb, v30
	v_fma_f16 v138, v137, s16, -v136
	v_add_f16_e32 v128, v138, v128
	v_mul_f16_e32 v138, 0xbbeb, v25
	v_fma_f16 v139, v131, s16, v138
	v_add_f16_e32 v129, v139, v129
	v_add_f16_e32 v139, v31, v135
	v_sub_f16_e32 v31, v31, v135
	v_add_f16_e32 v135, v132, v28
	v_sub_f16_e32 v28, v132, v28
	v_mul_f16_e32 v132, 0xba0c, v28
	;; [unrolled: 10-line block ×3, first 2 shown]
	v_fma_f16 v142, v141, s18, -v134
	v_add_f16_e32 v128, v142, v128
	v_mul_f16_e32 v142, 0xb482, v27
	v_fma_f16 v143, v133, s18, v142
	v_add_f16_e32 v129, v143, v129
	v_pack_b32_f16 v61, v88, v124
	v_pack_b32_f16 v124, v128, v129
	v_lshl_add_u32 v88, v60, 2, v85
	v_mul_f16_e32 v60, 0xba0c, v26
	ds_write2_b32 v88, v61, v124 offset1:6
	v_fma_f16 v61, v125, s17, -v60
	v_add_f16_e32 v61, v61, v122
	v_mul_f16_e32 v122, 0xba0c, v29
	v_fma_f16 v124, v126, s17, v122
	v_add_f16_e32 v118, v124, v118
	v_mul_f16_e32 v124, 0x3482, v26
	v_fma_f16 v128, v125, s18, -v124
	v_add_f16_e32 v119, v128, v119
	v_mul_f16_e32 v128, 0x3482, v29
	v_fma_f16 v129, v126, s18, v128
	v_add_f16_e32 v117, v129, v117
	v_mul_f16_e32 v129, 0x3482, v30
	;; [unrolled: 6-line block ×7, first 2 shown]
	v_fma_f16 v153, v141, s17, -v152
	v_add_f16_e32 v119, v153, v119
	v_mul_f16_e32 v153, 0xba0c, v27
	v_fma_f16 v154, v133, s17, v153
	v_add_f16_e32 v117, v154, v117
	v_pack_b32_f16 v61, v61, v118
	v_pack_b32_f16 v117, v119, v117
	ds_write2_b32 v88, v61, v117 offset0:12 offset1:18
	v_mul_f16_e32 v61, 0x3beb, v26
	v_fma_f16 v117, v125, s16, -v61
	v_add_f16_e32 v108, v117, v108
	v_mul_f16_e32 v117, 0x3beb, v29
	v_fma_f16 v118, v126, s16, v117
	v_mul_f16_e32 v26, 0x3853, v26
	v_add_f16_e32 v106, v118, v106
	v_fma_f16 v118, v125, s14, -v26
	v_mul_f16_e32 v29, 0x3853, v29
	v_add_f16_e32 v107, v118, v107
	v_fma_f16 v118, v126, s14, v29
	v_add_f16_e32 v105, v118, v105
	v_mul_f16_e32 v118, 0xb853, v30
	v_fma_f16 v119, v137, s14, -v118
	v_add_f16_e32 v108, v119, v108
	v_mul_f16_e32 v119, 0xb853, v25
	v_fma_f16 v154, v131, s14, v119
	v_mul_f16_e32 v30, 0xba0c, v30
	v_add_f16_e32 v106, v154, v106
	v_fma_f16 v154, v137, s17, -v30
	v_mul_f16_e32 v25, 0xba0c, v25
	v_add_f16_e32 v107, v154, v107
	v_fma_f16 v154, v131, s17, v25
	v_add_f16_e32 v105, v154, v105
	v_mul_f16_e32 v154, 0xb482, v28
	v_fma_f16 v155, v139, s18, -v154
	v_add_f16_e32 v108, v155, v108
	v_mul_f16_e32 v155, 0xb482, v31
	v_fma_f16 v156, v135, s18, v155
	v_mul_f16_e32 v28, 0x3b47, v28
	v_add_f16_e32 v106, v156, v106
	v_fma_f16 v156, v139, s15, -v28
	v_mul_f16_e32 v31, 0x3b47, v31
	v_add_f16_e32 v107, v156, v107
	v_fma_f16 v156, v135, s15, v31
	v_fma_f16 v26, v125, s14, v26
	v_add_f16_e32 v105, v156, v105
	v_mul_f16_e32 v156, 0x3b47, v32
	v_fma_f16 v61, v125, s16, v61
	v_add_f16_e32 v26, v26, v101
	v_fma_f16 v29, v126, s14, -v29
	v_fma_f16 v30, v137, s17, v30
	v_fma_f16 v157, v141, s15, -v156
	v_add_f16_e32 v61, v61, v100
	v_fma_f16 v100, v126, s16, -v117
	v_add_f16_e32 v29, v29, v99
	v_fma_f16 v99, v137, s14, v118
	v_add_f16_e32 v26, v30, v26
	v_fma_f16 v25, v131, s17, -v25
	v_fma_f16 v28, v139, s15, v28
	v_add_f16_e32 v108, v157, v108
	v_mul_f16_e32 v157, 0x3b47, v27
	v_add_f16_e32 v98, v100, v98
	v_add_f16_e32 v61, v99, v61
	v_fma_f16 v99, v131, s14, -v119
	v_add_f16_e32 v25, v25, v29
	v_fma_f16 v29, v139, s18, v154
	v_add_f16_e32 v26, v28, v26
	v_fma_f16 v28, v135, s15, -v31
	v_fma_f16 v158, v133, s15, v157
	v_mul_f16_e32 v32, 0xbbeb, v32
	v_add_f16_e32 v98, v99, v98
	v_add_f16_e32 v29, v29, v61
	v_fma_f16 v30, v135, s18, -v155
	v_add_f16_e32 v25, v28, v25
	v_fma_f16 v28, v141, s15, v156
	v_add_f16_e32 v106, v158, v106
	v_fma_f16 v158, v141, s16, -v32
	v_mul_f16_e32 v27, 0xbbeb, v27
	v_add_f16_e32 v30, v30, v98
	v_add_f16_e32 v28, v28, v29
	v_fma_f16 v29, v133, s15, -v157
	v_add_f16_e32 v107, v158, v107
	v_fma_f16 v158, v133, s16, v27
	v_add_f16_e32 v29, v29, v30
	v_fma_f16 v30, v141, s16, v32
	v_fma_f16 v27, v133, s16, -v27
	v_add_f16_e32 v26, v30, v26
	v_add_f16_e32 v25, v27, v25
	v_pack_b32_f16 v25, v26, v25
	v_pack_b32_f16 v26, v28, v29
	ds_write2_b32 v88, v25, v26 offset0:36 offset1:42
	v_fma_f16 v25, v125, s17, v60
	v_add_f16_e32 v25, v25, v91
	v_fma_f16 v26, v126, s17, -v122
	v_fma_f16 v29, v137, s18, v129
	v_add_f16_e32 v26, v26, v89
	v_fma_f16 v27, v125, s18, v124
	v_add_f16_e32 v25, v29, v25
	v_fma_f16 v29, v131, s18, -v143
	v_add_f16_e32 v27, v27, v92
	v_fma_f16 v28, v126, s18, -v128
	v_add_f16_e32 v26, v29, v26
	v_fma_f16 v29, v137, s15, v144
	v_add_f16_e32 v28, v28, v90
	v_add_f16_e32 v27, v29, v27
	v_fma_f16 v29, v131, s15, -v145
	v_add_f16_e32 v28, v29, v28
	v_fma_f16 v29, v139, s16, v146
	v_add_f16_e32 v25, v29, v25
	v_fma_f16 v29, v135, s16, -v147
	v_add_f16_e32 v26, v29, v26
	v_fma_f16 v29, v139, s14, v148
	;; [unrolled: 4-line block ×4, first 2 shown]
	v_add_f16_e32 v27, v29, v27
	v_fma_f16 v29, v133, s17, -v153
	v_add_f16_e32 v28, v29, v28
	v_pack_b32_f16 v27, v27, v28
	v_pack_b32_f16 v25, v25, v26
	ds_write2_b32 v88, v27, v25 offset0:48 offset1:54
	v_fma_f16 v25, v125, s15, v127
	v_add_f16_e32 v25, v25, v63
	v_fma_f16 v26, v126, s15, -v130
	v_fma_f16 v27, v137, s16, v136
	v_add_f16_e32 v26, v26, v62
	v_add_f16_e32 v25, v27, v25
	v_fma_f16 v27, v131, s16, -v138
	v_add_f16_e32 v26, v27, v26
	v_fma_f16 v27, v139, s17, v132
	v_add_f16_e32 v25, v27, v25
	v_fma_f16 v27, v135, s17, -v140
	v_add_f16_e32 v26, v27, v26
	v_fma_f16 v27, v141, s18, v134
	v_add_f16_e32 v28, v27, v25
	v_fma_f16 v25, v133, s18, -v142
	v_add_f16_e32 v138, v25, v26
	v_mul_f16_e32 v25, 0xb853, v103
	v_fma_f16 v26, v94, s14, v25
	v_add_f16_e32 v27, v23, v26
	v_mul_f16_e32 v26, 0xbb47, v110
	v_fma_f16 v29, v102, s15, v26
	v_sub_f16_e32 v117, v38, v59
	v_add_f16_e32 v60, v29, v27
	v_add_f16_e32 v129, v35, v40
	v_mul_f16_e32 v27, 0xb853, v117
	v_fma_f16 v29, v129, s14, -v27
	v_sub_f16_e32 v119, v41, v58
	v_add_f16_e32 v30, v49, v29
	v_add_f16_e32 v131, v37, v39
	v_mul_f16_e32 v29, 0xbb47, v119
	v_fma_f16 v31, v131, s15, -v29
	v_add_f16_e32 v61, v31, v30
	v_mul_f16_e32 v31, 0xbb47, v117
	v_fma_f16 v30, v129, s15, -v31
	v_mul_f16_e32 v32, 0xba0c, v119
	v_add_f16_e32 v30, v49, v30
	v_fma_f16 v62, v131, s17, -v32
	v_mul_f16_e32 v63, 0xbbeb, v117
	v_add_f16_e32 v62, v62, v30
	;; [unrolled: 3-line block ×4, first 2 shown]
	v_fma_f16 v30, v94, s17, v98
	v_mul_f16_e32 v100, 0x3beb, v110
	v_add_f16_e32 v30, v23, v30
	v_fma_f16 v91, v102, s16, v100
	v_mul_f16_e32 v122, 0xba0c, v117
	v_add_f16_e32 v92, v91, v30
	v_fma_f16 v30, v129, s17, -v122
	v_mul_f16_e32 v124, 0x3beb, v119
	v_add_f16_e32 v30, v49, v30
	v_fma_f16 v91, v131, s16, -v124
	v_add_f16_e32 v99, v91, v30
	v_mul_f16_e32 v30, 0xbbeb, v114
	v_fma_f16 v91, v111, s16, v30
	v_sub_f16_e32 v132, v50, v57
	v_add_f16_e32 v105, v158, v105
	v_add_f16_e32 v101, v91, v60
	;; [unrolled: 1-line block ×3, first 2 shown]
	v_mul_f16_e32 v60, 0xbbeb, v132
	v_pack_b32_f16 v106, v108, v106
	v_pack_b32_f16 v105, v107, v105
	v_fma_f16 v91, v137, s16, -v60
	ds_write2_b32 v88, v106, v105 offset0:24 offset1:30
	v_add_f16_e32 v105, v91, v61
	v_mul_f16_e32 v91, 0x3482, v132
	v_fma_f16 v61, v137, s18, -v91
	v_mul_f16_e32 v118, 0x3b47, v132
	v_add_f16_e32 v106, v61, v62
	v_fma_f16 v61, v137, s15, -v118
	v_mul_f16_e32 v125, 0xb853, v114
	v_add_f16_e32 v89, v61, v89
	v_fma_f16 v61, v111, s14, v125
	v_mul_f16_e32 v128, 0xb853, v132
	v_add_f16_e32 v92, v61, v92
	v_fma_f16 v61, v137, s14, -v128
	v_add_f16_e32 v99, v61, v99
	v_mul_f16_e32 v61, 0xba0c, v120
	v_fma_f16 v62, v115, s17, v61
	v_sub_f16_e32 v135, v51, v56
	v_add_f16_e32 v107, v62, v101
	v_add_f16_e32 v140, v34, v42
	v_mul_f16_e32 v62, 0xba0c, v135
	v_fma_f16 v101, v140, s17, -v62
	v_add_f16_e32 v105, v101, v105
	v_mul_f16_e32 v101, 0x3beb, v135
	v_fma_f16 v108, v140, s16, -v101
	v_mul_f16_e32 v127, 0xb853, v135
	v_add_f16_e32 v106, v108, v106
	v_fma_f16 v108, v140, s14, -v127
	v_mul_f16_e32 v130, 0xb482, v120
	v_add_f16_e32 v136, v108, v89
	v_fma_f16 v89, v115, s18, v130
	v_mul_f16_e32 v134, 0xb482, v135
	v_add_f16_e32 v142, v89, v92
	v_fma_f16 v89, v140, s18, -v134
	v_add_f16_e32 v99, v89, v99
	v_mul_f16_e32 v89, 0xb482, v123
	v_fma_f16 v92, v121, s18, v89
	v_sub_f16_e32 v139, v53, v55
	v_add_f16_e32 v107, v92, v107
	v_add_f16_e32 v141, v36, v24
	v_mul_f16_e32 v92, 0xb482, v139
	v_fma_f16 v108, v141, s18, -v92
	v_mul_f16_e32 v126, 0x3853, v139
	v_add_f16_e32 v108, v108, v105
	v_fma_f16 v105, v141, s14, -v126
	v_mul_f16_e32 v133, 0xba0c, v139
	v_add_f16_e32 v106, v105, v106
	v_fma_f16 v105, v141, s17, -v133
	v_add_f16_e32 v105, v105, v136
	v_mul_f16_e32 v136, 0x3b47, v139
	v_pack_b32_f16 v28, v28, v138
	v_mul_f16_e32 v138, 0x3b47, v123
	v_fma_f16 v143, v141, s15, -v136
	ds_write_b32 v88, v28 offset:240
	v_fma_f16 v28, v121, s15, v138
	v_add_f16_e32 v99, v143, v99
	v_add_f16_e32 v28, v28, v142
	s_and_saveexec_b64 s[12:13], s[0:1]
	s_cbranch_execz .LBB0_5
; %bb.4:
	v_mul_f16_e32 v143, 0x3abb, v129
	v_mul_f16_e32 v145, 0x36a6, v129
	;; [unrolled: 1-line block ×10, first 2 shown]
	v_fma_f16 v182, v117, s27, v129
	v_mul_f16_e32 v131, 0x3abb, v131
	v_add_f16_e32 v63, v63, v147
	v_add_f16_e32 v31, v31, v145
	v_mul_f16_e32 v150, 0x36a6, v102
	v_mul_f16_e32 v159, 0xb08e, v137
	;; [unrolled: 1-line block ×5, first 2 shown]
	v_add_f16_e32 v182, v49, v182
	v_fma_f16 v183, v119, s26, v131
	v_mul_f16_e32 v137, 0xb93d, v137
	s_movk_i32 s26, 0x3a0c
	v_add_f16_e32 v63, v49, v63
	v_add_f16_e32 v90, v90, v155
	;; [unrolled: 1-line block ×4, first 2 shown]
	v_sub_f16_e32 v25, v142, v25
	v_mul_f16_e32 v158, 0xb08e, v111
	v_mul_f16_e32 v167, 0xb93d, v140
	;; [unrolled: 1-line block ×5, first 2 shown]
	v_add_f16_e32 v182, v183, v182
	v_fma_f16 v183, v132, s26, v137
	v_mul_f16_e32 v140, 0x36a6, v140
	v_add_f16_e32 v63, v90, v63
	v_add_f16_e32 v90, v118, v163
	v_add_f16_e32 v31, v32, v31
	v_add_f16_e32 v32, v91, v161
	v_add_f16_e32 v25, v23, v25
	v_sub_f16_e32 v26, v150, v26
	v_mul_f16_e32 v166, 0xb93d, v115
	v_mul_f16_e32 v175, 0xbbad, v141
	;; [unrolled: 1-line block ×5, first 2 shown]
	v_add_f16_e32 v182, v183, v182
	v_fma_f16 v183, v135, s24, v140
	v_mul_f16_e32 v141, 0xb08e, v141
	v_add_f16_e32 v63, v90, v63
	v_add_f16_e32 v90, v127, v171
	v_add_f16_e32 v31, v32, v31
	v_add_f16_e32 v32, v101, v169
	v_add_f16_e32 v25, v26, v25
	v_sub_f16_e32 v26, v158, v30
	v_mul_f16_e32 v144, 0x36a6, v94
	v_mul_f16_e32 v146, 0xb08e, v94
	v_mul_f16_e32 v148, 0xb93d, v94
	v_mul_f16_e32 v174, 0xbbad, v121
	v_add_f16_e32 v182, v183, v182
	v_fma_f16 v183, v139, s25, v141
	v_mul_f16_e32 v103, 0xb482, v103
	v_add_f16_e32 v63, v90, v63
	v_add_f16_e32 v90, v133, v179
	;; [unrolled: 1-line block ×5, first 2 shown]
	v_sub_f16_e32 v26, v166, v61
	v_add_f16_e32 v182, v183, v182
	v_fma_f16 v183, v94, s18, v103
	v_fma_f16 v94, v94, s18, -v103
	v_sub_f16_e32 v98, v148, v98
	v_add_f16_e32 v63, v90, v63
	v_sub_f16_e32 v90, v146, v95
	v_add_f16_e32 v31, v32, v31
	;; [unrolled: 2-line block ×4, first 2 shown]
	v_add_f16_e32 v94, v23, v94
	v_add_f16_e32 v98, v23, v98
	;; [unrolled: 1-line block ×7, first 2 shown]
	v_mul_f16_e32 v110, 0x3853, v110
	v_add_f16_e32 v23, v23, v41
	v_add_f16_e32 v26, v26, v37
	v_mul_f16_e32 v152, 0xb93d, v102
	v_mul_f16_e32 v154, 0xbbad, v102
	;; [unrolled: 1-line block ×3, first 2 shown]
	v_fma_f16 v184, v102, s14, v110
	v_mul_f16_e32 v114, 0xba0c, v114
	v_fma_f16 v102, v102, s14, -v110
	v_add_f16_e32 v23, v23, v50
	v_add_f16_e32 v26, v26, v33
	v_mul_f16_e32 v120, 0x3b47, v120
	v_add_f16_e32 v94, v102, v94
	v_fma_f16 v102, v111, s17, -v114
	v_add_f16_e32 v23, v23, v51
	v_add_f16_e32 v26, v26, v34
	v_mul_f16_e32 v123, 0xbbeb, v123
	v_add_f16_e32 v94, v102, v94
	v_fma_f16 v102, v115, s15, -v120
	v_add_f16_e32 v27, v27, v143
	v_add_f16_e32 v23, v23, v53
	;; [unrolled: 1-line block ×4, first 2 shown]
	v_fma_f16 v102, v121, s16, -v123
	v_add_f16_e32 v27, v49, v27
	v_add_f16_e32 v29, v29, v151
	v_add_f16_e32 v23, v23, v55
	v_add_f16_e32 v24, v26, v24
	v_mul_f16_e32 v160, 0xbbad, v111
	v_mul_f16_e32 v162, 0x36a6, v111
	v_fma_f16 v117, v117, s22, v129
	v_add_f16_e32 v94, v102, v94
	v_add_f16_e32 v102, v122, v149
	v_sub_f16_e32 v95, v154, v96
	v_sub_f16_e32 v64, v152, v93
	v_add_f16_e32 v27, v29, v27
	v_add_f16_e32 v29, v60, v159
	;; [unrolled: 1-line block ×4, first 2 shown]
	v_mul_f16_e32 v164, 0x3abb, v111
	v_mul_f16_e32 v168, 0xb08e, v115
	;; [unrolled: 1-line block ×3, first 2 shown]
	v_add_f16_e32 v117, v49, v117
	v_fma_f16 v119, v119, s23, v131
	v_add_f16_e32 v102, v49, v102
	v_add_f16_e32 v103, v124, v157
	v_sub_f16_e32 v100, v156, v100
	v_add_f16_e32 v90, v95, v90
	v_sub_f16_e32 v95, v162, v104
	;; [unrolled: 2-line block ×3, first 2 shown]
	v_add_f16_e32 v27, v29, v27
	v_add_f16_e32 v29, v62, v167
	;; [unrolled: 1-line block ×4, first 2 shown]
	v_mul_f16_e32 v172, 0xbbad, v115
	v_mul_f16_e32 v176, 0x3abb, v121
	;; [unrolled: 1-line block ×3, first 2 shown]
	v_add_f16_e32 v117, v119, v117
	v_fma_f16 v119, v132, s20, v137
	v_add_f16_e32 v102, v103, v102
	v_add_f16_e32 v103, v128, v165
	;; [unrolled: 1-line block ×3, first 2 shown]
	v_sub_f16_e32 v100, v164, v125
	v_add_f16_e32 v90, v95, v90
	v_sub_f16_e32 v95, v170, v112
	v_add_f16_e32 v32, v64, v32
	;; [unrolled: 2-line block ×3, first 2 shown]
	v_add_f16_e32 v29, v92, v175
	v_add_f16_e32 v23, v23, v58
	;; [unrolled: 1-line block ×3, first 2 shown]
	v_mul_u32_u24_e32 v26, 0x42, v86
	v_mul_f16_e32 v180, 0x36a6, v121
	v_add_f16_e32 v183, v184, v183
	v_fma_f16 v184, v111, s17, v114
	v_add_f16_e32 v117, v119, v117
	v_fma_f16 v119, v135, s21, v140
	v_add_f16_e32 v102, v103, v102
	v_add_f16_e32 v103, v134, v173
	;; [unrolled: 1-line block ×3, first 2 shown]
	v_sub_f16_e32 v100, v172, v130
	v_add_f16_e32 v90, v95, v90
	v_sub_f16_e32 v95, v178, v116
	v_add_f16_e32 v32, v64, v32
	;; [unrolled: 2-line block ×3, first 2 shown]
	v_add_f16_e32 v23, v23, v59
	v_add_f16_e32 v24, v24, v40
	v_add_u32_sdwa v26, v26, v87 dst_sel:DWORD dst_unused:UNUSED_PAD src0_sel:DWORD src1_sel:BYTE_0
	v_add_f16_e32 v183, v184, v183
	v_fma_f16 v184, v115, s15, v120
	v_add_f16_e32 v117, v119, v117
	v_fma_f16 v119, v139, s19, v141
	v_add_f16_e32 v102, v103, v102
	v_add_f16_e32 v103, v136, v181
	;; [unrolled: 1-line block ×3, first 2 shown]
	v_sub_f16_e32 v100, v180, v138
	v_add_f16_e32 v90, v95, v90
	v_add_f16_e32 v32, v64, v32
	v_lshl_add_u32 v26, v26, 2, v85
	v_pack_b32_f16 v23, v23, v24
	v_pack_b32_f16 v24, v25, v27
	v_add_f16_e32 v183, v184, v183
	v_fma_f16 v184, v121, s16, v123
	v_add_f16_e32 v117, v119, v117
	v_add_f16_e32 v102, v103, v102
	;; [unrolled: 1-line block ×3, first 2 shown]
	ds_write2_b32 v26, v23, v24 offset1:6
	v_pack_b32_f16 v23, v32, v31
	v_pack_b32_f16 v24, v90, v63
	v_add_f16_e32 v183, v184, v183
	ds_write2_b32 v26, v23, v24 offset0:12 offset1:18
	v_pack_b32_f16 v23, v98, v102
	v_pack_b32_f16 v24, v94, v117
	s_mov_b32 s14, 0x5040100
	ds_write2_b32 v26, v23, v24 offset0:24 offset1:30
	v_pack_b32_f16 v23, v183, v182
	v_perm_b32 v24, v99, v28, s14
	ds_write2_b32 v26, v23, v24 offset0:36 offset1:42
	v_perm_b32 v23, v105, v21, s14
	v_perm_b32 v24, v106, v22, s14
	ds_write2_b32 v26, v23, v24 offset0:48 offset1:54
	v_perm_b32 v23, v108, v107, s14
	ds_write_b32 v26, v23 offset:240
.LBB0_5:
	s_or_b64 exec, exec, s[12:13]
	s_movk_i32 s12, 0x108
	v_add_co_u32_e32 v41, vcc, s12, v82
	s_movk_i32 s12, 0x14a
	v_add_co_u32_e32 v51, vcc, s12, v82
	s_movk_i32 s12, 0xf9
	v_mul_lo_u16_sdwa v26, v43, s12 dst_sel:DWORD dst_unused:UNUSED_PAD src0_sel:BYTE_0 src1_sel:DWORD
	v_lshrrev_b16_e32 v26, 14, v26
	v_mul_lo_u16_e32 v26, 0x42, v26
	v_add_co_u32_e32 v39, vcc, 0xc6, v82
	v_sub_u16_e32 v26, v43, v26
	v_mov_b32_e32 v27, 2
	s_mov_b32 s12, 0xf83f
	v_lshlrev_b32_sdwa v40, v27, v26 dst_sel:DWORD dst_unused:UNUSED_PAD src0_sel:DWORD src1_sel:BYTE_0
	v_mul_u32_u24_sdwa v26, v39, s12 dst_sel:DWORD dst_unused:UNUSED_PAD src0_sel:WORD_0 src1_sel:DWORD
	v_lshrrev_b32_e32 v26, 22, v26
	v_mul_lo_u16_e32 v26, 0x42, v26
	v_sub_u16_e32 v26, v39, v26
	v_mul_u32_u24_sdwa v59, v41, s12 dst_sel:DWORD dst_unused:UNUSED_PAD src0_sel:WORD_0 src1_sel:DWORD
	v_lshlrev_b32_e32 v42, 2, v26
	v_lshrrev_b32_e32 v26, 22, v59
	v_mul_lo_u16_e32 v26, 0x42, v26
	v_sub_u16_e32 v26, v41, v26
	v_mul_u32_u24_sdwa v61, v51, s12 dst_sel:DWORD dst_unused:UNUSED_PAD src0_sel:WORD_0 src1_sel:DWORD
	v_lshlrev_b32_e32 v60, 2, v26
	v_lshrrev_b32_e32 v26, 22, v61
	v_mul_lo_u16_e32 v26, 0x42, v26
	v_add_u32_e32 v23, 0x18c, v82
	v_sub_u16_e32 v26, v51, v26
	v_lshlrev_b32_e32 v62, 2, v26
	v_mul_u32_u24_sdwa v26, v23, s12 dst_sel:DWORD dst_unused:UNUSED_PAD src0_sel:WORD_0 src1_sel:DWORD
	v_lshrrev_b32_e32 v26, 22, v26
	v_mul_lo_u16_e32 v26, 0x42, v26
	v_add_u32_e32 v24, 0x1ce, v82
	v_sub_u16_e32 v23, v23, v26
	v_lshlrev_b32_e32 v63, 2, v23
	v_mul_u32_u24_sdwa v23, v24, s12 dst_sel:DWORD dst_unused:UNUSED_PAD src0_sel:WORD_0 src1_sel:DWORD
	v_lshrrev_b32_e32 v23, 22, v23
	v_lshlrev_b32_e32 v50, 2, v82
	v_mul_lo_u16_e32 v23, 0x42, v23
	v_add_u32_e32 v25, 0x210, v82
	s_waitcnt lgkmcnt(0)
	s_barrier
	global_load_dword v89, v50, s[10:11] offset:240
	global_load_dword v92, v60, s[10:11] offset:240
	;; [unrolled: 1-line block ×4, first 2 shown]
	v_sub_u16_e32 v23, v24, v23
	v_lshlrev_b32_e32 v64, 2, v23
	global_load_dword v95, v64, s[10:11] offset:240
	v_mul_u32_u24_sdwa v23, v25, s12 dst_sel:DWORD dst_unused:UNUSED_PAD src0_sel:WORD_0 src1_sel:DWORD
	v_lshrrev_b32_e32 v23, 22, v23
	v_mul_lo_u16_e32 v23, 0x42, v23
	global_load_dword v90, v40, s[10:11] offset:240
	v_sub_u16_e32 v23, v25, v23
	v_lshlrev_b32_e32 v104, 2, v23
	global_load_dword v96, v104, s[10:11] offset:240
	global_load_dword v91, v42, s[10:11] offset:240
	v_add_u32_e32 v57, 0x800, v84
	ds_read2_b32 v[23:24], v84 offset1:66
	ds_read2_b32 v[25:26], v57 offset0:16 offset1:82
	ds_read2_b32 v[29:30], v57 offset0:148 offset1:214
	v_add_u32_e32 v58, 0xc00, v84
	ds_read2_b32 v[33:34], v58 offset0:24 offset1:90
	v_add_u32_e32 v27, 0x400, v84
	s_waitcnt lgkmcnt(2)
	v_lshrrev_b32_e32 v98, 16, v26
	s_waitcnt lgkmcnt(1)
	v_lshrrev_b32_e32 v101, 16, v29
	v_lshrrev_b32_e32 v103, 16, v30
	ds_read2_b32 v[31:32], v84 offset0:132 offset1:198
	ds_read2_b32 v[35:36], v27 offset0:8 offset1:74
	s_waitcnt lgkmcnt(2)
	v_lshrrev_b32_e32 v110, 16, v33
	ds_read2_b32 v[37:38], v58 offset0:156 offset1:222
	ds_read2_b32 v[53:54], v27 offset0:140 offset1:206
	v_lshrrev_b32_e32 v112, 16, v34
	v_add_u32_e32 v49, 0x1000, v84
	ds_read2_b32 v[55:56], v49 offset0:32 offset1:98
	s_waitcnt lgkmcnt(2)
	v_lshrrev_b32_e32 v114, 16, v37
	v_lshrrev_b32_e32 v116, 16, v38
	;; [unrolled: 1-line block ×4, first 2 shown]
	s_waitcnt lgkmcnt(0)
	v_lshrrev_b32_e32 v118, 16, v55
	v_lshrrev_b32_e32 v120, 16, v56
	;; [unrolled: 1-line block ×5, first 2 shown]
	s_waitcnt vmcnt(0)
	s_barrier
	v_lshrrev_b32_e32 v113, 16, v36
	v_lshrrev_b32_e32 v115, 16, v53
	;; [unrolled: 1-line block ×4, first 2 shown]
	v_add_u32_e32 v104, v85, v104
	s_movk_i32 s12, 0x3aee
	s_mov_b32 s13, 0xbaee
	v_lshlrev_b32_e32 v39, 3, v39
	v_mul_f16_sdwa v121, v98, v89 dst_sel:DWORD dst_unused:UNUSED_PAD src0_sel:DWORD src1_sel:WORD_1
	v_fma_f16 v121, v26, v89, -v121
	v_mul_f16_sdwa v26, v26, v89 dst_sel:DWORD dst_unused:UNUSED_PAD src0_sel:DWORD src1_sel:WORD_1
	v_fma_f16 v26, v98, v89, v26
	v_mul_f16_sdwa v98, v101, v89 dst_sel:DWORD dst_unused:UNUSED_PAD src0_sel:DWORD src1_sel:WORD_1
	v_fma_f16 v98, v29, v89, -v98
	v_mul_f16_sdwa v29, v29, v89 dst_sel:DWORD dst_unused:UNUSED_PAD src0_sel:DWORD src1_sel:WORD_1
	v_fma_f16 v29, v101, v89, v29
	v_sub_f16_e32 v26, v97, v26
	v_fma_f16 v97, v97, 2.0, -v26
	v_mul_f16_sdwa v101, v103, v90 dst_sel:DWORD dst_unused:UNUSED_PAD src0_sel:DWORD src1_sel:WORD_1
	v_fma_f16 v101, v30, v90, -v101
	v_mul_f16_sdwa v30, v30, v90 dst_sel:DWORD dst_unused:UNUSED_PAD src0_sel:DWORD src1_sel:WORD_1
	v_fma_f16 v30, v103, v90, v30
	v_mul_f16_sdwa v103, v110, v91 dst_sel:DWORD dst_unused:UNUSED_PAD src0_sel:DWORD src1_sel:WORD_1
	v_fma_f16 v103, v33, v91, -v103
	v_mul_f16_sdwa v33, v33, v91 dst_sel:DWORD dst_unused:UNUSED_PAD src0_sel:DWORD src1_sel:WORD_1
	v_fma_f16 v33, v110, v91, v33
	;; [unrolled: 4-line block ×7, first 2 shown]
	v_sub_f16_e32 v120, v23, v121
	v_fma_f16 v23, v23, 2.0, -v120
	v_sub_f16_e32 v98, v24, v98
	v_sub_f16_e32 v29, v100, v29
	v_fma_f16 v24, v24, 2.0, -v98
	v_fma_f16 v100, v100, 2.0, -v29
	v_sub_f16_e32 v101, v31, v101
	v_sub_f16_e32 v30, v102, v30
	v_pack_b32_f16 v23, v23, v97
	v_pack_b32_f16 v26, v120, v26
	v_fma_f16 v31, v31, 2.0, -v101
	v_fma_f16 v102, v102, 2.0, -v30
	v_sub_f16_e32 v103, v32, v103
	v_sub_f16_e32 v33, v109, v33
	ds_write2_b32 v84, v23, v26 offset1:66
	v_pack_b32_f16 v23, v24, v100
	v_pack_b32_f16 v24, v98, v29
	v_add_u32_e32 v97, v85, v40
	v_fma_f16 v32, v32, 2.0, -v103
	v_fma_f16 v109, v109, 2.0, -v33
	v_sub_f16_e32 v110, v35, v110
	v_sub_f16_e32 v34, v111, v34
	ds_write2_b32 v84, v23, v24 offset0:132 offset1:198
	v_pack_b32_f16 v23, v31, v102
	v_pack_b32_f16 v24, v101, v30
	v_add_u32_e32 v26, 0x400, v97
	v_add_u32_e32 v98, v85, v42
	v_fma_f16 v35, v35, 2.0, -v110
	v_fma_f16 v111, v111, 2.0, -v34
	v_sub_f16_e32 v112, v36, v112
	v_sub_f16_e32 v37, v113, v37
	ds_write2_b32 v26, v23, v24 offset0:8 offset1:74
	v_pack_b32_f16 v23, v32, v109
	v_pack_b32_f16 v24, v103, v33
	v_add_u32_e32 v26, 0x400, v98
	v_add_u32_e32 v100, v85, v60
	v_fma_f16 v36, v36, 2.0, -v112
	v_fma_f16 v113, v113, 2.0, -v37
	v_sub_f16_e32 v114, v53, v114
	v_sub_f16_e32 v38, v115, v38
	ds_write2_b32 v26, v23, v24 offset0:140 offset1:206
	v_pack_b32_f16 v23, v35, v111
	v_pack_b32_f16 v24, v110, v34
	v_add_u32_e32 v26, 0x800, v100
	v_add_u32_e32 v101, v85, v62
	v_fma_f16 v53, v53, 2.0, -v114
	v_fma_f16 v115, v115, 2.0, -v38
	v_sub_f16_e32 v116, v54, v116
	v_sub_f16_e32 v55, v117, v55
	ds_write2_b32 v26, v23, v24 offset0:16 offset1:82
	v_pack_b32_f16 v23, v36, v113
	v_pack_b32_f16 v24, v112, v37
	v_add_u32_e32 v26, 0x800, v101
	v_add_u32_e32 v102, v85, v63
	v_fma_f16 v54, v54, 2.0, -v116
	v_fma_f16 v117, v117, 2.0, -v55
	v_sub_f16_e32 v118, v25, v118
	v_sub_f16_e32 v56, v119, v56
	ds_write2_b32 v26, v23, v24 offset0:148 offset1:214
	v_pack_b32_f16 v23, v53, v115
	v_pack_b32_f16 v24, v114, v38
	v_add_u32_e32 v26, 0xc00, v102
	v_add_u32_e32 v103, v85, v64
	v_fma_f16 v25, v25, 2.0, -v118
	v_fma_f16 v119, v119, 2.0, -v56
	ds_write2_b32 v26, v23, v24 offset0:24 offset1:90
	v_pack_b32_f16 v23, v54, v117
	v_pack_b32_f16 v24, v116, v55
	v_add_u32_e32 v26, 0xc00, v103
	ds_write2_b32 v26, v23, v24 offset0:156 offset1:222
	v_pack_b32_f16 v23, v25, v119
	v_pack_b32_f16 v24, v118, v56
	v_add_u32_e32 v25, 0x1000, v104
	v_lshlrev_b32_e32 v40, 3, v82
	ds_write2_b32 v25, v23, v24 offset0:32 offset1:98
	s_waitcnt lgkmcnt(0)
	s_barrier
	global_load_dwordx2 v[23:24], v40, s[10:11] offset:504
	v_lshlrev_b32_e32 v42, 3, v44
	global_load_dwordx2 v[25:26], v42, s[10:11] offset:504
	v_lshrrev_b32_e32 v29, 23, v59
	v_mul_lo_u16_e32 v29, 0x84, v29
	v_sub_u16_e32 v44, v41, v29
	v_lshlrev_b16_e32 v29, 3, v44
	v_mov_b32_e32 v32, s11
	v_add_co_u32_e32 v29, vcc, s10, v29
	v_lshrrev_b32_e32 v31, 23, v61
	v_addc_co_u32_e32 v30, vcc, 0, v32, vcc
	global_load_dwordx2 v[29:30], v[29:30], off offset:504
	v_mul_lo_u16_e32 v31, 0x84, v31
	v_sub_u16_e32 v111, v51, v31
	v_lshlrev_b16_e32 v31, 3, v111
	v_add_co_u32_e32 v31, vcc, s10, v31
	v_addc_co_u32_e32 v32, vcc, 0, v32, vcc
	global_load_dwordx2 v[31:32], v[31:32], off offset:504
	ds_read2_b32 v[33:34], v84 offset1:66
	ds_read2_b32 v[35:36], v27 offset0:140 offset1:206
	ds_read2_b32 v[37:38], v58 offset0:24 offset1:90
	;; [unrolled: 1-line block ×8, first 2 shown]
	s_waitcnt lgkmcnt(8)
	v_lshrrev_b32_e32 v112, 16, v33
	s_waitcnt lgkmcnt(7)
	v_lshrrev_b32_e32 v113, 16, v35
	;; [unrolled: 2-line block ×3, first 2 shown]
	v_lshrrev_b32_e32 v116, 16, v36
	v_lshrrev_b32_e32 v117, 16, v38
	s_waitcnt lgkmcnt(4)
	v_lshrrev_b32_e32 v119, 16, v55
	s_waitcnt lgkmcnt(3)
	v_lshrrev_b32_e32 v120, 16, v59
	v_lshrrev_b32_e32 v122, 16, v56
	;; [unrolled: 1-line block ×3, first 2 shown]
	s_waitcnt lgkmcnt(1)
	v_lshrrev_b32_e32 v125, 16, v63
	s_waitcnt lgkmcnt(0)
	v_lshrrev_b32_e32 v126, 16, v109
	v_lshrrev_b32_e32 v128, 16, v64
	;; [unrolled: 1-line block ×8, first 2 shown]
	s_waitcnt vmcnt(0)
	s_barrier
	v_lshlrev_b32_e32 v41, 3, v41
	v_mul_f16_sdwa v130, v113, v23 dst_sel:DWORD dst_unused:UNUSED_PAD src0_sel:DWORD src1_sel:WORD_1
	v_fma_f16 v130, v35, v23, -v130
	v_mul_f16_sdwa v35, v35, v23 dst_sel:DWORD dst_unused:UNUSED_PAD src0_sel:DWORD src1_sel:WORD_1
	v_fma_f16 v35, v113, v23, v35
	v_mul_f16_sdwa v113, v114, v24 dst_sel:DWORD dst_unused:UNUSED_PAD src0_sel:DWORD src1_sel:WORD_1
	v_fma_f16 v113, v37, v24, -v113
	v_mul_f16_sdwa v37, v37, v24 dst_sel:DWORD dst_unused:UNUSED_PAD src0_sel:DWORD src1_sel:WORD_1
	v_fma_f16 v37, v114, v24, v37
	;; [unrolled: 4-line block ×11, first 2 shown]
	v_mul_f16_sdwa v128, v129, v32 dst_sel:DWORD dst_unused:UNUSED_PAD src0_sel:DWORD src1_sel:WORD_1
	v_fma_f16 v128, v110, v32, -v128
	v_mul_f16_sdwa v110, v110, v32 dst_sel:DWORD dst_unused:UNUSED_PAD src0_sel:DWORD src1_sel:WORD_1
	v_add_f16_e32 v131, v130, v113
	v_fma_f16 v110, v129, v32, v110
	v_add_f16_e32 v129, v33, v130
	v_fma_f16 v33, v131, -0.5, v33
	v_sub_f16_e32 v131, v35, v37
	v_fma_f16 v132, v131, s12, v33
	v_fma_f16 v33, v131, s13, v33
	v_add_f16_e32 v131, v112, v35
	v_add_f16_e32 v35, v35, v37
	;; [unrolled: 1-line block ×4, first 2 shown]
	v_fma_f16 v35, v35, -0.5, v112
	v_sub_f16_e32 v37, v130, v113
	v_add_f16_e32 v113, v114, v116
	v_fma_f16 v112, v37, s13, v35
	v_fma_f16 v35, v37, s12, v35
	v_add_f16_e32 v37, v34, v114
	v_fma_f16 v34, v113, -0.5, v34
	v_sub_f16_e32 v113, v36, v38
	v_fma_f16 v130, v113, s12, v34
	v_fma_f16 v34, v113, s13, v34
	v_add_f16_e32 v113, v115, v36
	v_add_f16_e32 v36, v36, v38
	v_add_f16_e32 v113, v113, v38
	v_fma_f16 v36, v36, -0.5, v115
	v_sub_f16_e32 v38, v114, v116
	v_add_f16_e32 v115, v117, v119
	v_fma_f16 v114, v38, s13, v36
	v_fma_f16 v36, v38, s12, v36
	v_add_f16_e32 v38, v53, v117
	v_fma_f16 v53, v115, -0.5, v53
	v_sub_f16_e32 v115, v55, v59
	v_add_f16_e32 v37, v37, v116
	v_fma_f16 v116, v115, s12, v53
	v_fma_f16 v53, v115, s13, v53
	v_add_f16_e32 v115, v118, v55
	v_add_f16_e32 v55, v55, v59
	v_add_f16_e32 v115, v115, v59
	v_fma_f16 v55, v55, -0.5, v118
	v_sub_f16_e32 v59, v117, v119
	v_add_f16_e32 v118, v120, v122
	v_fma_f16 v117, v59, s13, v55
	v_fma_f16 v55, v59, s12, v55
	v_add_f16_e32 v59, v54, v120
	v_fma_f16 v54, v118, -0.5, v54
	v_sub_f16_e32 v118, v56, v60
	v_add_f16_e32 v38, v38, v119
	v_fma_f16 v119, v118, s12, v54
	v_fma_f16 v54, v118, s13, v54
	v_add_f16_e32 v118, v121, v56
	v_add_f16_e32 v56, v56, v60
	v_add_f16_e32 v118, v118, v60
	v_fma_f16 v56, v56, -0.5, v121
	v_sub_f16_e32 v60, v120, v122
	v_add_f16_e32 v121, v123, v125
	v_fma_f16 v120, v60, s13, v56
	v_fma_f16 v56, v60, s12, v56
	v_add_f16_e32 v60, v61, v123
	v_fma_f16 v61, v121, -0.5, v61
	v_sub_f16_e32 v121, v63, v109
	v_add_f16_e32 v59, v59, v122
	v_fma_f16 v122, v121, s12, v61
	v_fma_f16 v61, v121, s13, v61
	v_add_f16_e32 v121, v124, v63
	v_add_f16_e32 v63, v63, v109
	;; [unrolled: 1-line block ×3, first 2 shown]
	v_fma_f16 v63, v63, -0.5, v124
	v_sub_f16_e32 v109, v123, v125
	v_fma_f16 v123, v109, s13, v63
	v_fma_f16 v63, v109, s12, v63
	v_add_f16_e32 v109, v62, v126
	v_add_f16_e32 v124, v109, v128
	v_add_f16_e32 v109, v126, v128
	v_fma_f16 v62, v109, -0.5, v62
	v_sub_f16_e32 v109, v64, v110
	v_add_f16_e32 v60, v60, v125
	v_fma_f16 v125, v109, s12, v62
	v_fma_f16 v62, v109, s13, v62
	v_add_f16_e32 v109, v127, v64
	v_add_f16_e32 v64, v64, v110
	;; [unrolled: 1-line block ×3, first 2 shown]
	v_fma_f16 v64, v64, -0.5, v127
	v_sub_f16_e32 v109, v126, v128
	v_pack_b32_f16 v33, v33, v35
	v_pack_b32_f16 v34, v34, v36
	v_fma_f16 v126, v109, s13, v64
	v_fma_f16 v64, v109, s12, v64
	v_pack_b32_f16 v109, v129, v131
	v_pack_b32_f16 v35, v37, v113
	ds_write2_b32 v27, v33, v34 offset0:8 offset1:74
	v_pack_b32_f16 v33, v38, v115
	v_pack_b32_f16 v36, v59, v118
	;; [unrolled: 1-line block ×3, first 2 shown]
	ds_write2_b32 v84, v109, v35 offset1:66
	v_pack_b32_f16 v35, v130, v114
	v_pack_b32_f16 v34, v116, v117
	ds_write2_b32 v27, v33, v36 offset0:140 offset1:206
	v_pack_b32_f16 v33, v119, v120
	ds_write2_b32 v84, v110, v35 offset0:132 offset1:198
	;; [unrolled: 2-line block ×3, first 2 shown]
	v_pack_b32_f16 v33, v54, v56
	v_lshl_add_u32 v109, v44, 2, v85
	ds_write2_b32 v57, v35, v33 offset0:148 offset1:214
	v_pack_b32_f16 v33, v60, v121
	v_pack_b32_f16 v34, v122, v123
	v_add_u32_e32 v35, 0xc00, v109
	ds_write2_b32 v35, v33, v34 offset0:24 offset1:156
	v_pack_b32_f16 v33, v61, v63
	v_lshl_add_u32 v110, v111, 2, v85
	ds_write_b32 v109, v33 offset:4224
	v_pack_b32_f16 v33, v124, v133
	v_pack_b32_f16 v34, v125, v126
	v_add_u32_e32 v35, 0xc00, v110
	ds_write2_b32 v35, v33, v34 offset0:24 offset1:156
	v_pack_b32_f16 v33, v62, v64
	ds_write_b32 v110, v33 offset:4224
	s_waitcnt lgkmcnt(0)
	s_barrier
	global_load_dwordx2 v[33:34], v40, s[10:11] offset:1560
	global_load_dwordx2 v[35:36], v42, s[10:11] offset:1560
	v_lshlrev_b32_e32 v37, 3, v43
	global_load_dwordx2 v[37:38], v37, s[10:11] offset:1560
	v_lshlrev_b32_e32 v43, 3, v51
	global_load_dwordx2 v[39:40], v39, s[10:11] offset:1560
	v_lshl_add_u32 v111, v48, 2, v46
	global_load_dwordx2 v[41:42], v41, s[10:11] offset:1560
	v_add_co_u32_e32 v48, vcc, s8, v50
	global_load_dwordx2 v[43:44], v43, s[10:11] offset:1560
	ds_read2_b32 v[53:54], v84 offset1:66
	ds_read2_b32 v[55:56], v27 offset0:140 offset1:206
	ds_read2_b32 v[59:60], v58 offset0:24 offset1:90
	;; [unrolled: 1-line block ×8, first 2 shown]
	s_waitcnt lgkmcnt(8)
	v_lshrrev_b32_e32 v118, 16, v53
	s_waitcnt lgkmcnt(7)
	v_lshrrev_b32_e32 v119, 16, v55
	;; [unrolled: 2-line block ×3, first 2 shown]
	v_lshrrev_b32_e32 v122, 16, v56
	v_lshrrev_b32_e32 v123, 16, v60
	s_waitcnt lgkmcnt(4)
	v_lshrrev_b32_e32 v125, 16, v61
	s_waitcnt lgkmcnt(3)
	v_lshrrev_b32_e32 v126, 16, v63
	v_lshrrev_b32_e32 v128, 16, v62
	;; [unrolled: 1-line block ×3, first 2 shown]
	s_waitcnt lgkmcnt(1)
	v_lshrrev_b32_e32 v131, 16, v114
	s_waitcnt lgkmcnt(0)
	v_lshrrev_b32_e32 v132, 16, v116
	v_lshrrev_b32_e32 v134, 16, v115
	;; [unrolled: 1-line block ×8, first 2 shown]
	v_mov_b32_e32 v46, s9
	v_addc_co_u32_e32 v46, vcc, 0, v46, vcc
	s_movk_i32 s8, 0x1000
	s_mov_b32 s9, 0xb8003800
	s_waitcnt vmcnt(5)
	v_mul_f16_sdwa v136, v119, v33 dst_sel:DWORD dst_unused:UNUSED_PAD src0_sel:DWORD src1_sel:WORD_1
	v_fma_f16 v136, v55, v33, -v136
	v_mul_f16_sdwa v55, v55, v33 dst_sel:DWORD dst_unused:UNUSED_PAD src0_sel:DWORD src1_sel:WORD_1
	v_fma_f16 v55, v119, v33, v55
	v_mul_f16_sdwa v119, v120, v34 dst_sel:DWORD dst_unused:UNUSED_PAD src0_sel:DWORD src1_sel:WORD_1
	v_fma_f16 v119, v59, v34, -v119
	v_mul_f16_sdwa v59, v59, v34 dst_sel:DWORD dst_unused:UNUSED_PAD src0_sel:DWORD src1_sel:WORD_1
	v_fma_f16 v59, v120, v34, v59
	s_waitcnt vmcnt(4)
	v_mul_f16_sdwa v120, v122, v35 dst_sel:DWORD dst_unused:UNUSED_PAD src0_sel:DWORD src1_sel:WORD_1
	v_fma_f16 v120, v56, v35, -v120
	v_mul_f16_sdwa v56, v56, v35 dst_sel:DWORD dst_unused:UNUSED_PAD src0_sel:DWORD src1_sel:WORD_1
	v_fma_f16 v56, v122, v35, v56
	v_mul_f16_sdwa v122, v123, v36 dst_sel:DWORD dst_unused:UNUSED_PAD src0_sel:DWORD src1_sel:WORD_1
	v_fma_f16 v122, v60, v36, -v122
	v_mul_f16_sdwa v60, v60, v36 dst_sel:DWORD dst_unused:UNUSED_PAD src0_sel:DWORD src1_sel:WORD_1
	v_fma_f16 v60, v123, v36, v60
	;; [unrolled: 9-line block ×5, first 2 shown]
	s_waitcnt vmcnt(0)
	v_mul_f16_sdwa v132, v134, v43 dst_sel:DWORD dst_unused:UNUSED_PAD src0_sel:DWORD src1_sel:WORD_1
	v_fma_f16 v132, v115, v43, -v132
	v_mul_f16_sdwa v115, v115, v43 dst_sel:DWORD dst_unused:UNUSED_PAD src0_sel:DWORD src1_sel:WORD_1
	v_fma_f16 v115, v134, v43, v115
	v_mul_f16_sdwa v134, v135, v44 dst_sel:DWORD dst_unused:UNUSED_PAD src0_sel:DWORD src1_sel:WORD_1
	v_fma_f16 v134, v117, v44, -v134
	v_mul_f16_sdwa v117, v117, v44 dst_sel:DWORD dst_unused:UNUSED_PAD src0_sel:DWORD src1_sel:WORD_1
	v_add_f16_e32 v137, v136, v119
	v_fma_f16 v117, v135, v44, v117
	v_add_f16_e32 v135, v53, v136
	v_fma_f16 v53, v137, -0.5, v53
	v_sub_f16_e32 v137, v55, v59
	v_fma_f16 v138, v137, s12, v53
	v_fma_f16 v53, v137, s13, v53
	v_add_f16_e32 v137, v118, v55
	v_add_f16_e32 v55, v55, v59
	;; [unrolled: 1-line block ×4, first 2 shown]
	v_fma_f16 v55, v55, -0.5, v118
	v_sub_f16_e32 v59, v136, v119
	v_add_f16_e32 v119, v120, v122
	v_fma_f16 v118, v59, s13, v55
	v_fma_f16 v55, v59, s12, v55
	v_add_f16_e32 v59, v54, v120
	v_fma_f16 v54, v119, -0.5, v54
	v_sub_f16_e32 v119, v56, v60
	v_fma_f16 v136, v119, s12, v54
	v_fma_f16 v54, v119, s13, v54
	v_add_f16_e32 v119, v121, v56
	v_add_f16_e32 v56, v56, v60
	v_add_f16_e32 v119, v119, v60
	v_fma_f16 v56, v56, -0.5, v121
	v_sub_f16_e32 v60, v120, v122
	v_add_f16_e32 v121, v123, v125
	v_fma_f16 v120, v60, s13, v56
	v_fma_f16 v56, v60, s12, v56
	v_add_f16_e32 v60, v50, v123
	v_fma_f16 v50, v121, -0.5, v50
	v_sub_f16_e32 v121, v61, v63
	v_add_f16_e32 v59, v59, v122
	v_fma_f16 v122, v121, s12, v50
	v_fma_f16 v50, v121, s13, v50
	v_add_f16_e32 v121, v124, v61
	v_add_f16_e32 v61, v61, v63
	v_add_f16_e32 v121, v121, v63
	v_fma_f16 v61, v61, -0.5, v124
	v_sub_f16_e32 v63, v123, v125
	v_add_f16_e32 v124, v126, v128
	v_fma_f16 v123, v63, s13, v61
	v_fma_f16 v61, v63, s12, v61
	v_add_f16_e32 v63, v51, v126
	v_fma_f16 v51, v124, -0.5, v51
	v_sub_f16_e32 v124, v62, v64
	v_add_f16_e32 v60, v60, v125
	;; [unrolled: 14-line block ×4, first 2 shown]
	v_fma_f16 v131, v130, s12, v113
	v_fma_f16 v113, v130, s13, v113
	v_add_f16_e32 v130, v133, v115
	v_add_f16_e32 v115, v115, v117
	v_add_f16_e32 v130, v130, v117
	v_fma_f16 v115, v115, -0.5, v133
	v_sub_f16_e32 v117, v132, v134
	v_pack_b32_f16 v53, v53, v55
	v_fma_f16 v132, v117, s13, v115
	v_fma_f16 v115, v117, s12, v115
	v_pack_b32_f16 v117, v135, v137
	v_pack_b32_f16 v118, v138, v118
	ds_write_b32 v84, v53 offset:3168
	v_pack_b32_f16 v53, v59, v119
	ds_write_b32 v84, v118 offset:1584
	ds_write2_b32 v84, v117, v53 offset1:66
	v_pack_b32_f16 v53, v136, v120
	ds_write_b32 v84, v53 offset:1848
	v_pack_b32_f16 v53, v54, v56
	ds_write_b32 v84, v53 offset:3432
	v_pack_b32_f16 v53, v60, v121
	v_pack_b32_f16 v55, v63, v124
	;; [unrolled: 1-line block ×3, first 2 shown]
	ds_write2_b32 v84, v53, v55 offset0:132 offset1:198
	v_pack_b32_f16 v53, v125, v126
	v_add_u32_e32 v55, 0x800, v111
	v_add_f16_e32 v116, v116, v134
	v_pack_b32_f16 v50, v50, v61
	ds_write2_b32 v55, v54, v53 offset0:16 offset1:82
	v_pack_b32_f16 v51, v51, v62
	v_add_u32_e32 v53, 0xc00, v111
	ds_write2_b32 v53, v50, v51 offset0:156 offset1:222
	v_pack_b32_f16 v50, v64, v127
	v_pack_b32_f16 v54, v116, v130
	;; [unrolled: 1-line block ×3, first 2 shown]
	ds_write2_b32 v27, v50, v54 offset0:8 offset1:74
	v_pack_b32_f16 v50, v131, v132
	v_pack_b32_f16 v53, v112, v114
	ds_write2_b32 v55, v51, v50 offset0:148 offset1:214
	v_pack_b32_f16 v50, v113, v115
	v_add_u32_e32 v51, 0x1000, v111
	ds_write2_b32 v51, v53, v50 offset0:32 offset1:98
	v_add_co_u32_e32 v50, vcc, s8, v48
	v_addc_co_u32_e32 v51, vcc, 0, v46, vcc
	s_waitcnt lgkmcnt(0)
	s_barrier
	global_load_dword v61, v[50:51], off offset:656
	s_movk_i32 s8, 0x1290
	v_add_co_u32_e32 v50, vcc, s8, v48
	v_addc_co_u32_e32 v51, vcc, 0, v46, vcc
	global_load_dword v63, v[50:51], off offset:792
	global_load_dword v112, v[50:51], off offset:1584
	;; [unrolled: 1-line block ×8, first 2 shown]
	ds_read2_b32 v[53:54], v84 offset1:66
	global_load_dword v119, v[50:51], off offset:2640
	global_load_dword v120, v[50:51], off offset:3432
	s_movk_i32 s8, 0x2000
	v_add_co_u32_e32 v59, vcc, s8, v48
	s_waitcnt lgkmcnt(0)
	v_lshrrev_b32_e32 v62, 16, v53
	v_addc_co_u32_e32 v60, vcc, 0, v46, vcc
	global_load_dword v46, v[59:60], off offset:784
	s_mov_b32 s8, 0xffff
	s_waitcnt vmcnt(11)
	v_mul_f16_sdwa v55, v62, v61 dst_sel:DWORD dst_unused:UNUSED_PAD src0_sel:DWORD src1_sel:WORD_1
	v_fma_f16 v64, v53, v61, -v55
	ds_read2_b32 v[55:56], v84 offset0:132 offset1:198
	v_mul_f16_sdwa v53, v53, v61 dst_sel:DWORD dst_unused:UNUSED_PAD src0_sel:DWORD src1_sel:WORD_1
	v_fma_f16 v48, v62, v61, v53
	global_load_dword v121, v[50:51], off offset:2112
	global_load_dword v122, v[50:51], off offset:1320
	;; [unrolled: 1-line block ×3, first 2 shown]
	ds_read2_b32 v[61:62], v27 offset0:140 offset1:206
	s_waitcnt lgkmcnt(1)
	v_lshrrev_b32_e32 v53, 16, v56
	v_pack_b32_f16 v48, v64, v48
	s_waitcnt vmcnt(13)
	v_mul_f16_sdwa v64, v53, v63 dst_sel:DWORD dst_unused:UNUSED_PAD src0_sel:DWORD src1_sel:WORD_1
	v_fma_f16 v64, v56, v63, -v64
	v_mul_f16_sdwa v56, v56, v63 dst_sel:DWORD dst_unused:UNUSED_PAD src0_sel:DWORD src1_sel:WORD_1
	v_fma_f16 v53, v53, v63, v56
	v_pack_b32_f16 v56, v64, v53
	ds_read2_b32 v[63:64], v57 offset0:16 offset1:82
	s_waitcnt lgkmcnt(1)
	v_lshrrev_b32_e32 v53, 16, v61
	s_waitcnt vmcnt(12)
	v_mul_f16_sdwa v124, v53, v112 dst_sel:DWORD dst_unused:UNUSED_PAD src0_sel:DWORD src1_sel:WORD_1
	v_fma_f16 v124, v61, v112, -v124
	v_mul_f16_sdwa v61, v61, v112 dst_sel:DWORD dst_unused:UNUSED_PAD src0_sel:DWORD src1_sel:WORD_1
	v_fma_f16 v53, v53, v112, v61
	v_pack_b32_f16 v61, v124, v53
	s_waitcnt lgkmcnt(0)
	v_lshrrev_b32_e32 v53, 16, v64
	global_load_dword v124, v[50:51], off offset:3696
	global_load_dword v125, v[50:51], off offset:2904
	s_waitcnt vmcnt(13)
	v_mul_f16_sdwa v112, v53, v113 dst_sel:DWORD dst_unused:UNUSED_PAD src0_sel:DWORD src1_sel:WORD_1
	ds_read2_b32 v[50:51], v58 offset0:24 offset1:90
	v_fma_f16 v112, v64, v113, -v112
	v_mul_f16_sdwa v64, v64, v113 dst_sel:DWORD dst_unused:UNUSED_PAD src0_sel:DWORD src1_sel:WORD_1
	v_fma_f16 v53, v53, v113, v64
	v_pack_b32_f16 v64, v112, v53
	ds_read2_b32 v[112:113], v58 offset0:156 offset1:222
	s_waitcnt lgkmcnt(1)
	v_lshrrev_b32_e32 v53, 16, v50
	s_waitcnt vmcnt(12)
	v_mul_f16_sdwa v126, v53, v114 dst_sel:DWORD dst_unused:UNUSED_PAD src0_sel:DWORD src1_sel:WORD_1
	v_fma_f16 v126, v50, v114, -v126
	v_mul_f16_sdwa v50, v50, v114 dst_sel:DWORD dst_unused:UNUSED_PAD src0_sel:DWORD src1_sel:WORD_1
	v_fma_f16 v50, v53, v114, v50
	s_waitcnt lgkmcnt(0)
	v_lshrrev_b32_e32 v53, 16, v113
	s_waitcnt vmcnt(11)
	v_mul_f16_sdwa v114, v53, v115 dst_sel:DWORD dst_unused:UNUSED_PAD src0_sel:DWORD src1_sel:WORD_1
	v_fma_f16 v114, v113, v115, -v114
	v_mul_f16_sdwa v113, v113, v115 dst_sel:DWORD dst_unused:UNUSED_PAD src0_sel:DWORD src1_sel:WORD_1
	v_fma_f16 v53, v53, v115, v113
	global_load_dword v113, v[59:60], off offset:1048
	v_pack_b32_f16 v114, v114, v53
	v_lshrrev_b32_e32 v53, 16, v54
	s_waitcnt vmcnt(11)
	v_mul_f16_sdwa v59, v53, v116 dst_sel:DWORD dst_unused:UNUSED_PAD src0_sel:DWORD src1_sel:WORD_1
	v_fma_f16 v115, v54, v116, -v59
	ds_read2_b32 v[59:60], v27 offset0:8 offset1:74
	v_mul_f16_sdwa v54, v54, v116 dst_sel:DWORD dst_unused:UNUSED_PAD src0_sel:DWORD src1_sel:WORD_1
	v_fma_f16 v53, v53, v116, v54
	v_pack_b32_f16 v53, v115, v53
	ds_write2_b32 v84, v48, v53 offset1:66
	s_waitcnt lgkmcnt(1)
	v_lshrrev_b32_e32 v48, 16, v59
	s_waitcnt vmcnt(10)
	v_mul_f16_sdwa v53, v48, v117 dst_sel:DWORD dst_unused:UNUSED_PAD src0_sel:DWORD src1_sel:WORD_1
	v_mul_f16_sdwa v54, v59, v117 dst_sel:DWORD dst_unused:UNUSED_PAD src0_sel:DWORD src1_sel:WORD_1
	v_fma_f16 v53, v59, v117, -v53
	v_fma_f16 v48, v48, v117, v54
	v_lshrrev_b32_e32 v59, 16, v62
	v_pack_b32_f16 v48, v53, v48
	s_waitcnt vmcnt(9)
	v_mul_f16_sdwa v53, v59, v118 dst_sel:DWORD dst_unused:UNUSED_PAD src0_sel:DWORD src1_sel:WORD_1
	v_fma_f16 v115, v62, v118, -v53
	ds_read2_b32 v[53:54], v57 offset0:148 offset1:214
	v_mul_f16_sdwa v62, v62, v118 dst_sel:DWORD dst_unused:UNUSED_PAD src0_sel:DWORD src1_sel:WORD_1
	v_fma_f16 v59, v59, v118, v62
	v_pack_b32_f16 v59, v115, v59
	ds_write2_b32 v27, v61, v59 offset0:140 offset1:206
	s_waitcnt lgkmcnt(1)
	v_lshrrev_b32_e32 v59, 16, v53
	s_waitcnt vmcnt(8)
	v_mul_f16_sdwa v61, v59, v119 dst_sel:DWORD dst_unused:UNUSED_PAD src0_sel:DWORD src1_sel:WORD_1
	v_fma_f16 v61, v53, v119, -v61
	v_mul_f16_sdwa v53, v53, v119 dst_sel:DWORD dst_unused:UNUSED_PAD src0_sel:DWORD src1_sel:WORD_1
	v_fma_f16 v53, v59, v119, v53
	v_lshrrev_b32_e32 v59, 16, v51
	v_pack_b32_f16 v53, v61, v53
	s_waitcnt vmcnt(7)
	v_mul_f16_sdwa v61, v59, v120 dst_sel:DWORD dst_unused:UNUSED_PAD src0_sel:DWORD src1_sel:WORD_1
	v_fma_f16 v115, v51, v120, -v61
	ds_read2_b32 v[61:62], v49 offset0:32 offset1:98
	v_mul_f16_sdwa v51, v51, v120 dst_sel:DWORD dst_unused:UNUSED_PAD src0_sel:DWORD src1_sel:WORD_1
	v_fma_f16 v51, v59, v120, v51
	v_pack_b32_f16 v50, v126, v50
	v_pack_b32_f16 v51, v115, v51
	ds_write2_b32 v58, v50, v51 offset0:24 offset1:90
	s_waitcnt lgkmcnt(1)
	v_lshrrev_b32_e32 v50, 16, v61
	s_waitcnt vmcnt(6)
	v_mul_f16_sdwa v51, v50, v46 dst_sel:DWORD dst_unused:UNUSED_PAD src0_sel:DWORD src1_sel:WORD_1
	v_mul_f16_sdwa v59, v61, v46 dst_sel:DWORD dst_unused:UNUSED_PAD src0_sel:DWORD src1_sel:WORD_1
	v_fma_f16 v51, v61, v46, -v51
	v_fma_f16 v46, v50, v46, v59
	v_lshrrev_b32_e32 v50, 16, v55
	v_pack_b32_f16 v46, v51, v46
	s_waitcnt vmcnt(3)
	v_mul_f16_sdwa v51, v50, v123 dst_sel:DWORD dst_unused:UNUSED_PAD src0_sel:DWORD src1_sel:WORD_1
	v_fma_f16 v51, v55, v123, -v51
	v_mul_f16_sdwa v55, v55, v123 dst_sel:DWORD dst_unused:UNUSED_PAD src0_sel:DWORD src1_sel:WORD_1
	v_fma_f16 v50, v50, v123, v55
	v_pack_b32_f16 v50, v51, v50
	ds_write2_b32 v84, v50, v56 offset0:132 offset1:198
	v_lshrrev_b32_e32 v50, 16, v60
	v_mul_f16_sdwa v51, v50, v122 dst_sel:DWORD dst_unused:UNUSED_PAD src0_sel:DWORD src1_sel:WORD_1
	v_mul_f16_sdwa v55, v60, v122 dst_sel:DWORD dst_unused:UNUSED_PAD src0_sel:DWORD src1_sel:WORD_1
	v_fma_f16 v51, v60, v122, -v51
	v_fma_f16 v50, v50, v122, v55
	v_pack_b32_f16 v50, v51, v50
	ds_write2_b32 v27, v48, v50 offset0:8 offset1:74
	v_lshrrev_b32_e32 v48, 16, v63
	v_mul_f16_sdwa v50, v48, v121 dst_sel:DWORD dst_unused:UNUSED_PAD src0_sel:DWORD src1_sel:WORD_1
	v_mul_f16_sdwa v51, v63, v121 dst_sel:DWORD dst_unused:UNUSED_PAD src0_sel:DWORD src1_sel:WORD_1
	v_fma_f16 v50, v63, v121, -v50
	v_fma_f16 v48, v48, v121, v51
	v_pack_b32_f16 v48, v50, v48
	ds_write2_b32 v57, v48, v64 offset0:16 offset1:82
	v_lshrrev_b32_e32 v48, 16, v54
	s_waitcnt vmcnt(1)
	v_mul_f16_sdwa v50, v48, v125 dst_sel:DWORD dst_unused:UNUSED_PAD src0_sel:DWORD src1_sel:WORD_1
	v_mul_f16_sdwa v51, v54, v125 dst_sel:DWORD dst_unused:UNUSED_PAD src0_sel:DWORD src1_sel:WORD_1
	v_fma_f16 v50, v54, v125, -v50
	v_fma_f16 v48, v48, v125, v51
	v_pack_b32_f16 v48, v50, v48
	ds_write2_b32 v57, v53, v48 offset0:148 offset1:214
	v_lshrrev_b32_e32 v48, 16, v112
	v_mul_f16_sdwa v50, v48, v124 dst_sel:DWORD dst_unused:UNUSED_PAD src0_sel:DWORD src1_sel:WORD_1
	v_mul_f16_sdwa v51, v112, v124 dst_sel:DWORD dst_unused:UNUSED_PAD src0_sel:DWORD src1_sel:WORD_1
	v_fma_f16 v50, v112, v124, -v50
	v_fma_f16 v48, v48, v124, v51
	v_pack_b32_f16 v48, v50, v48
	ds_write2_b32 v58, v48, v114 offset0:156 offset1:222
	v_lshrrev_b32_e32 v48, 16, v62
	s_waitcnt vmcnt(0)
	v_mul_f16_sdwa v50, v48, v113 dst_sel:DWORD dst_unused:UNUSED_PAD src0_sel:DWORD src1_sel:WORD_1
	v_mul_f16_sdwa v51, v62, v113 dst_sel:DWORD dst_unused:UNUSED_PAD src0_sel:DWORD src1_sel:WORD_1
	v_fma_f16 v50, v62, v113, -v50
	v_fma_f16 v48, v48, v113, v51
	v_pack_b32_f16 v48, v50, v48
	ds_write2_b32 v49, v46, v48 offset0:32 offset1:98
	s_waitcnt lgkmcnt(0)
	s_barrier
	ds_read2_b32 v[50:51], v84 offset0:132 offset1:198
	ds_read2_b32 v[53:54], v27 offset0:8 offset1:74
	;; [unrolled: 1-line block ×6, first 2 shown]
	ds_read2_b32 v[112:113], v84 offset1:66
	ds_read2_b32 v[114:115], v27 offset0:140 offset1:206
	ds_read2_b32 v[116:117], v58 offset0:24 offset1:90
	s_waitcnt lgkmcnt(0)
	s_barrier
	v_pk_add_f16 v119, v112, v114
	v_pk_add_f16 v122, v114, v116
	v_pk_fma_f16 v112, v122, 0.5, v112 op_sel_hi:[1,0,1] neg_lo:[1,0,0] neg_hi:[1,0,0]
	v_pk_add_f16 v114, v114, v116 neg_lo:[0,1] neg_hi:[0,1]
	v_pk_add_f16 v120, v119, v116
	v_pk_fma_f16 v116, v114, s12, v112 op_sel:[0,0,1] op_sel_hi:[1,0,0] neg_lo:[1,0,0] neg_hi:[1,0,0]
	v_pk_fma_f16 v112, v114, s12, v112 op_sel:[0,0,1] op_sel_hi:[1,0,0]
	v_pk_add_f16 v114, v56, v60
	v_pk_add_f16 v119, v51, v56
	v_pk_fma_f16 v51, v114, 0.5, v51 op_sel_hi:[1,0,1] neg_lo:[1,0,0] neg_hi:[1,0,0]
	v_pk_add_f16 v56, v56, v60 neg_lo:[0,1] neg_hi:[0,1]
	v_pk_add_f16 v121, v119, v60
	v_pk_fma_f16 v60, v56, s12, v51 op_sel:[0,0,1] op_sel_hi:[1,0,0]
	v_pk_fma_f16 v51, v56, s12, v51 op_sel:[0,0,1] op_sel_hi:[1,0,0] neg_lo:[1,0,0] neg_hi:[1,0,0]
	v_pk_mul_f16 v122, v51, s12 op_sel_hi:[1,0]
	v_lshrrev_b32_e32 v56, 16, v51
	v_mul_f16_e32 v114, 0xbaee, v60
	v_pk_fma_f16 v124, v60, s9, v122 op_sel:[0,0,1] op_sel_hi:[1,1,0]
	v_pk_fma_f16 v125, v60, s9, v122 op_sel:[0,0,1] op_sel_hi:[1,1,0] neg_lo:[0,0,1] neg_hi:[0,0,1]
	v_lshrrev_b32_e32 v60, 16, v60
	v_mul_f16_e32 v51, -0.5, v51
	v_fma_f16 v56, v56, 0.5, v114
	v_bfi_b32 v122, s8, v124, v125
	v_fma_f16 v51, v60, s12, v51
	v_add_f16_sdwa v114, v116, v56 dst_sel:DWORD dst_unused:UNUSED_PAD src0_sel:WORD_1 src1_sel:DWORD
	v_pk_add_f16 v126, v112, v122
	v_add_f16_e32 v60, v116, v51
	v_pk_add_f16 v119, v120, v121
	v_pk_add_f16 v122, v120, v121 neg_lo:[0,1] neg_hi:[0,1]
	v_alignbit_b32 v121, v60, v126, 16
	v_pack_b32_f16 v120, v114, v126
	v_alignbit_b32 v60, v112, v116, 16
	v_pack_b32_f16 v56, v56, v124
	ds_write2_b64 v45, v[119:120], v[121:122] offset1:1
	v_pk_add_f16 v119, v60, v56 neg_lo:[0,1] neg_hi:[0,1]
	v_alignbit_b32 v56, v116, v112, 16
	v_alignbit_b32 v51, v51, v125, 16
	v_pk_add_f16 v120, v56, v51 neg_lo:[0,1] neg_hi:[0,1]
	ds_write_b64 v45, v[119:120] offset:16
	v_pk_add_f16 v45, v115, v117
	v_pk_fma_f16 v45, v45, 0.5, v113 op_sel_hi:[1,0,1] neg_lo:[1,0,0] neg_hi:[1,0,0]
	v_pk_add_f16 v51, v115, v117 neg_lo:[0,1] neg_hi:[0,1]
	v_pk_fma_f16 v56, v51, s12, v45 op_sel:[0,0,1] op_sel_hi:[1,0,0] neg_lo:[1,0,0] neg_hi:[1,0,0]
	v_pk_fma_f16 v51, v51, s12, v45 op_sel:[0,0,1] op_sel_hi:[1,0,0]
	v_pk_add_f16 v45, v61, v63
	v_pk_add_f16 v118, v53, v61
	v_pk_fma_f16 v45, v45, 0.5, v53 op_sel_hi:[1,0,1] neg_lo:[1,0,0] neg_hi:[1,0,0]
	v_pk_add_f16 v53, v61, v63 neg_lo:[0,1] neg_hi:[0,1]
	v_pk_fma_f16 v60, v53, s12, v45 op_sel:[0,0,1] op_sel_hi:[1,0,0]
	v_pk_fma_f16 v45, v53, s12, v45 op_sel:[0,0,1] op_sel_hi:[1,0,0] neg_lo:[1,0,0] neg_hi:[1,0,0]
	v_pk_add_f16 v46, v50, v55
	v_pk_add_f16 v48, v54, v62
	;; [unrolled: 1-line block ×3, first 2 shown]
	v_pk_mul_f16 v63, v45, s12 op_sel_hi:[1,0]
	v_pk_add_f16 v46, v46, v59
	v_pk_add_f16 v48, v48, v64
	v_lshrrev_b32_e32 v53, 16, v45
	v_mul_f16_e32 v61, 0xbaee, v60
	v_pk_fma_f16 v112, v60, s9, v63 op_sel:[0,0,1] op_sel_hi:[1,1,0]
	v_pk_fma_f16 v63, v60, s9, v63 op_sel:[0,0,1] op_sel_hi:[1,1,0] neg_lo:[0,0,1] neg_hi:[0,0,1]
	v_lshrrev_b32_e32 v60, 16, v60
	v_mul_f16_e32 v45, -0.5, v45
	v_pk_add_f16 v49, v46, v48
	v_pk_add_f16 v48, v46, v48 neg_lo:[0,1] neg_hi:[0,1]
	v_pk_add_f16 v46, v113, v115
	v_fma_f16 v53, v53, 0.5, v61
	v_bfi_b32 v113, s8, v112, v63
	v_fma_f16 v60, v60, s12, v45
	v_pk_add_f16 v46, v46, v117
	v_add_f16_sdwa v61, v56, v53 dst_sel:DWORD dst_unused:UNUSED_PAD src0_sel:WORD_1 src1_sel:DWORD
	v_pk_add_f16 v113, v51, v113
	v_add_f16_e32 v45, v56, v60
	v_pk_add_f16 v118, v46, v123
	v_pk_add_f16 v46, v46, v123 neg_lo:[0,1] neg_hi:[0,1]
	v_alignbit_b32 v45, v45, v113, 16
	v_pack_b32_f16 v119, v61, v113
	ds_write2_b64 v47, v[118:119], v[45:46] offset1:1
	v_alignbit_b32 v45, v51, v56, 16
	v_pack_b32_f16 v46, v53, v112
	v_pk_add_f16 v45, v45, v46 neg_lo:[0,1] neg_hi:[0,1]
	v_alignbit_b32 v46, v56, v51, 16
	v_alignbit_b32 v51, v60, v63, 16
	v_pk_add_f16 v46, v46, v51 neg_lo:[0,1] neg_hi:[0,1]
	ds_write_b64 v47, v[45:46] offset:16
	v_pk_add_f16 v45, v55, v59
	v_pk_fma_f16 v45, v45, 0.5, v50 op_sel_hi:[1,0,1] neg_lo:[1,0,0] neg_hi:[1,0,0]
	v_pk_add_f16 v47, v55, v59 neg_lo:[0,1] neg_hi:[0,1]
	v_pk_fma_f16 v55, v47, s12, v45 op_sel:[0,0,1] op_sel_hi:[1,0,0] neg_lo:[1,0,0] neg_hi:[1,0,0]
	v_pk_fma_f16 v45, v47, s12, v45 op_sel:[0,0,1] op_sel_hi:[1,0,0]
	v_pk_add_f16 v47, v62, v64
	v_pk_fma_f16 v47, v47, 0.5, v54 op_sel_hi:[1,0,1] neg_lo:[1,0,0] neg_hi:[1,0,0]
	v_pk_add_f16 v50, v62, v64 neg_lo:[0,1] neg_hi:[0,1]
	v_pk_fma_f16 v53, v50, s12, v47 op_sel:[0,0,1] op_sel_hi:[1,0,0]
	v_pk_fma_f16 v47, v50, s12, v47 op_sel:[0,0,1] op_sel_hi:[1,0,0] neg_lo:[1,0,0] neg_hi:[1,0,0]
	v_lshrrev_b32_e32 v50, 16, v47
	v_mul_f16_e32 v51, 0xbaee, v53
	v_fma_f16 v54, v50, 0.5, v51
	v_pk_mul_f16 v50, v47, s12 op_sel_hi:[1,0]
	v_pk_fma_f16 v56, v53, s9, v50 op_sel:[0,0,1] op_sel_hi:[1,1,0]
	v_pk_fma_f16 v59, v53, s9, v50 op_sel:[0,0,1] op_sel_hi:[1,1,0] neg_lo:[0,0,1] neg_hi:[0,0,1]
	v_bfi_b32 v50, s8, v56, v59
	v_pk_add_f16 v114, v45, v50
	v_lshrrev_b32_e32 v50, 16, v53
	v_mul_f16_e32 v47, -0.5, v47
	v_fma_f16 v60, v50, s12, v47
	v_add_f16_sdwa v51, v55, v54 dst_sel:DWORD dst_unused:UNUSED_PAD src0_sel:WORD_1 src1_sel:DWORD
	v_add_f16_e32 v113, v55, v60
	v_alignbit_b32 v47, v113, v114, 16
	v_pack_b32_f16 v50, v51, v114
	ds_write2_b64 v52, v[49:50], v[47:48] offset1:1
	v_alignbit_b32 v47, v45, v55, 16
	v_pack_b32_f16 v50, v54, v56
	v_pk_add_f16 v53, v47, v50 neg_lo:[0,1] neg_hi:[0,1]
	v_alignbit_b32 v45, v55, v45, 16
	v_alignbit_b32 v47, v60, v59, 16
	v_pk_add_f16 v54, v45, v47 neg_lo:[0,1] neg_hi:[0,1]
	v_add_u32_e32 v45, 0x200, v84
	ds_write_b64 v52, v[53:54] offset:16
	s_waitcnt lgkmcnt(0)
	s_barrier
	ds_read2_b32 v[63:64], v45 offset0:88 offset1:196
	v_add_u32_e32 v45, 0x600, v84
	ds_read2_b32 v[55:56], v84 offset1:108
	ds_read2_b32 v[61:62], v45 offset0:48 offset1:156
	ds_read2_b32 v[59:60], v57 offset0:136 offset1:244
	;; [unrolled: 1-line block ×3, first 2 shown]
	ds_read_b32 v117, v84 offset:4320
	v_lshrrev_b32_e32 v112, 16, v46
	v_lshrrev_b32_e32 v52, 16, v114
	;; [unrolled: 1-line block ×4, first 2 shown]
	s_and_saveexec_b64 s[8:9], s[0:1]
	s_cbranch_execz .LBB0_7
; %bb.6:
	v_add_u32_e32 v21, 0xa00, v84
	ds_read2_b32 v[46:47], v84 offset0:66 offset1:174
	ds_read2_b32 v[51:52], v27 offset0:26 offset1:134
	;; [unrolled: 1-line block ×4, first 2 shown]
	v_add_u32_e32 v21, 0xe00, v84
	ds_read2_b32 v[21:22], v21 offset0:34 offset1:142
	ds_read_b32 v107, v84 offset:4584
	s_waitcnt lgkmcnt(5)
	v_lshrrev_b32_e32 v112, 16, v46
	s_waitcnt lgkmcnt(4)
	v_lshrrev_b32_e32 v114, 16, v51
	v_lshrrev_b32_e32 v113, 16, v52
	s_waitcnt lgkmcnt(3)
	v_lshrrev_b32_e32 v115, 16, v49
	s_waitcnt lgkmcnt(2)
	v_lshrrev_b32_e32 v116, 16, v27
	v_lshrrev_b32_e32 v99, 16, v28
	s_waitcnt lgkmcnt(1)
	v_lshrrev_b32_e32 v105, 16, v21
	v_lshrrev_b32_e32 v106, 16, v22
	s_waitcnt lgkmcnt(0)
	v_lshrrev_b32_e32 v108, 16, v107
	v_mov_b32_e32 v54, v27
	v_mov_b32_e32 v53, v49
	;; [unrolled: 1-line block ×3, first 2 shown]
.LBB0_7:
	s_or_b64 exec, exec, s[8:9]
	v_add_u32_e32 v50, 0x210, v111
	v_add_u32_e32 v47, 0x318, v111
	;; [unrolled: 1-line block ×4, first 2 shown]
	s_waitcnt lgkmcnt(4)
	v_lshrrev_b32_e32 v111, 16, v56
	v_mul_f16_sdwa v127, v8, v111 dst_sel:DWORD dst_unused:UNUSED_PAD src0_sel:WORD_1 src1_sel:DWORD
	v_lshrrev_b32_e32 v118, 16, v63
	v_fma_f16 v127, v8, v56, v127
	v_mul_f16_sdwa v56, v8, v56 dst_sel:DWORD dst_unused:UNUSED_PAD src0_sel:WORD_1 src1_sel:DWORD
	v_fma_f16 v8, v8, v111, -v56
	v_mul_f16_sdwa v56, v9, v118 dst_sel:DWORD dst_unused:UNUSED_PAD src0_sel:WORD_1 src1_sel:DWORD
	v_lshrrev_b32_e32 v119, 16, v64
	v_fma_f16 v56, v9, v63, v56
	v_mul_f16_sdwa v63, v9, v63 dst_sel:DWORD dst_unused:UNUSED_PAD src0_sel:WORD_1 src1_sel:DWORD
	v_fma_f16 v9, v9, v118, -v63
	v_mul_f16_sdwa v63, v10, v119 dst_sel:DWORD dst_unused:UNUSED_PAD src0_sel:WORD_1 src1_sel:DWORD
	s_waitcnt lgkmcnt(3)
	v_lshrrev_b32_e32 v120, 16, v61
	v_fma_f16 v63, v10, v64, v63
	v_mul_f16_sdwa v64, v10, v64 dst_sel:DWORD dst_unused:UNUSED_PAD src0_sel:WORD_1 src1_sel:DWORD
	v_fma_f16 v10, v10, v119, -v64
	v_mul_f16_sdwa v64, v11, v120 dst_sel:DWORD dst_unused:UNUSED_PAD src0_sel:WORD_1 src1_sel:DWORD
	v_lshrrev_b32_e32 v121, 16, v62
	v_fma_f16 v64, v11, v61, v64
	v_mul_f16_sdwa v61, v11, v61 dst_sel:DWORD dst_unused:UNUSED_PAD src0_sel:WORD_1 src1_sel:DWORD
	v_fma_f16 v11, v11, v120, -v61
	v_mul_f16_sdwa v61, v12, v121 dst_sel:DWORD dst_unused:UNUSED_PAD src0_sel:WORD_1 src1_sel:DWORD
	s_waitcnt lgkmcnt(2)
	;; [unrolled: 11-line block ×4, first 2 shown]
	v_lshrrev_b32_e32 v126, 16, v117
	v_fma_f16 v57, v19, v58, v57
	v_mul_f16_sdwa v58, v19, v58 dst_sel:DWORD dst_unused:UNUSED_PAD src0_sel:WORD_1 src1_sel:DWORD
	v_fma_f16 v19, v19, v125, -v58
	v_mul_f16_sdwa v58, v20, v126 dst_sel:DWORD dst_unused:UNUSED_PAD src0_sel:WORD_1 src1_sel:DWORD
	v_mul_f16_sdwa v111, v20, v117 dst_sel:DWORD dst_unused:UNUSED_PAD src0_sel:WORD_1 src1_sel:DWORD
	v_fma_f16 v58, v20, v117, v58
	v_fma_f16 v20, v20, v126, -v111
	v_add_f16_e32 v111, v55, v127
	v_add_f16_sdwa v117, v55, v8 dst_sel:DWORD dst_unused:UNUSED_PAD src0_sel:WORD_1 src1_sel:DWORD
	v_add_f16_e32 v111, v111, v56
	v_add_f16_e32 v117, v117, v9
	;; [unrolled: 1-line block ×17, first 2 shown]
	v_sub_f16_e32 v8, v8, v20
	v_add_f16_e32 v111, v111, v58
	v_add_f16_e32 v117, v117, v20
	;; [unrolled: 1-line block ×3, first 2 shown]
	v_sub_f16_e32 v58, v127, v58
	s_mov_b32 s11, 0xb853
	v_mul_f16_e32 v20, 0xb853, v8
	s_movk_i32 s10, 0x3abb
	v_mul_f16_e32 v121, 0x3abb, v119
	s_movk_i32 s15, 0x3853
	s_mov_b32 s13, 0xbb47
	v_mul_f16_e32 v123, 0xbb47, v8
	s_movk_i32 s12, 0x36a6
	v_mul_f16_e32 v125, 0x36a6, v119
	s_movk_i32 s22, 0x3b47
	s_mov_b32 s16, 0xbbeb
	v_mul_f16_e32 v127, 0xbbeb, v8
	s_mov_b32 s14, 0xb08e
	v_mul_f16_e32 v129, 0xb08e, v119
	s_movk_i32 s21, 0x3beb
	s_mov_b32 s18, 0xba0c
	v_mul_f16_e32 v131, 0xba0c, v8
	v_mul_f16_e32 v133, 0xb93d, v119
	s_movk_i32 s24, 0x3a0c
	s_mov_b32 s20, 0xb482
	v_mul_f16_e32 v8, 0xb482, v8
	s_mov_b32 s19, 0xbbad
	v_mul_f16_e32 v119, 0xbbad, v119
	s_movk_i32 s23, 0x3482
	v_fma_f16 v120, v118, s10, v20
	v_fma_f16 v122, v58, s15, v121
	v_fma_f16 v20, v118, s10, -v20
	v_fma_f16 v121, v58, s11, v121
	v_fma_f16 v124, v118, s12, v123
	v_fma_f16 v126, v58, s22, v125
	v_fma_f16 v123, v118, s12, -v123
	v_fma_f16 v125, v58, s13, v125
	;; [unrolled: 4-line block ×5, first 2 shown]
	v_add_f16_e32 v118, v9, v19
	v_sub_f16_e32 v9, v9, v19
	v_add_f16_e32 v120, v55, v120
	v_add_f16_sdwa v122, v55, v122 dst_sel:DWORD dst_unused:UNUSED_PAD src0_sel:WORD_1 src1_sel:DWORD
	v_add_f16_e32 v20, v55, v20
	v_add_f16_sdwa v121, v55, v121 dst_sel:DWORD dst_unused:UNUSED_PAD src0_sel:WORD_1 src1_sel:DWORD
	;; [unrolled: 2-line block ×10, first 2 shown]
	v_add_f16_e32 v58, v56, v57
	v_mul_f16_e32 v19, 0xbb47, v9
	v_sub_f16_e32 v56, v56, v57
	v_fma_f16 v57, v58, s12, v19
	v_mul_f16_e32 v119, 0x36a6, v118
	v_fma_f16 v19, v58, s12, -v19
	v_add_f16_e32 v57, v57, v120
	v_fma_f16 v120, v56, s22, v119
	v_add_f16_e32 v19, v19, v20
	v_fma_f16 v20, v56, s13, v119
	v_mul_f16_e32 v119, 0xba0c, v9
	v_add_f16_e32 v120, v120, v122
	v_add_f16_e32 v20, v20, v121
	v_fma_f16 v121, v58, s17, v119
	v_mul_f16_e32 v122, 0xb93d, v118
	v_fma_f16 v119, v58, s17, -v119
	v_add_f16_e32 v121, v121, v124
	v_fma_f16 v124, v56, s24, v122
	v_add_f16_e32 v119, v119, v123
	v_fma_f16 v122, v56, s18, v122
	v_mul_f16_e32 v123, 0x3482, v9
	v_add_f16_e32 v124, v124, v126
	v_add_f16_e32 v122, v122, v125
	;; [unrolled: 10-line block ×3, first 2 shown]
	v_fma_f16 v129, v58, s14, v127
	v_mul_f16_e32 v130, 0xb08e, v118
	v_fma_f16 v127, v58, s14, -v127
	v_mul_f16_e32 v9, 0x3853, v9
	v_add_f16_e32 v129, v129, v132
	v_fma_f16 v132, v56, s16, v130
	v_add_f16_e32 v127, v127, v131
	v_fma_f16 v130, v56, s21, v130
	v_fma_f16 v131, v58, s10, v9
	v_mul_f16_e32 v118, 0x3abb, v118
	v_fma_f16 v9, v58, s10, -v9
	v_add_f16_e32 v130, v130, v133
	v_fma_f16 v133, v56, s11, v118
	v_add_f16_e32 v8, v9, v8
	v_fma_f16 v9, v56, s15, v118
	v_add_f16_e32 v56, v10, v15
	v_sub_f16_e32 v10, v10, v15
	v_add_f16_e32 v9, v9, v55
	v_add_f16_e32 v55, v63, v60
	v_mul_f16_e32 v15, 0xbbeb, v10
	v_sub_f16_e32 v58, v63, v60
	v_fma_f16 v60, v55, s14, v15
	v_add_f16_e32 v57, v60, v57
	v_mul_f16_e32 v60, 0xb08e, v56
	v_fma_f16 v15, v55, s14, -v15
	v_add_f16_e32 v15, v15, v19
	v_fma_f16 v19, v58, s16, v60
	v_add_f16_e32 v19, v19, v20
	v_mul_f16_e32 v20, 0x3482, v10
	v_fma_f16 v63, v58, s21, v60
	v_fma_f16 v60, v55, s19, v20
	v_fma_f16 v20, v55, s19, -v20
	v_mul_f16_e32 v118, 0xbbad, v56
	v_add_f16_e32 v20, v20, v119
	v_mul_f16_e32 v119, 0x3b47, v10
	v_add_f16_e32 v63, v63, v120
	v_add_f16_e32 v60, v60, v121
	v_fma_f16 v120, v58, s20, v118
	v_fma_f16 v118, v58, s23, v118
	;; [unrolled: 1-line block ×3, first 2 shown]
	v_fma_f16 v119, v55, s12, -v119
	v_add_f16_e32 v118, v118, v122
	v_mul_f16_e32 v122, 0x36a6, v56
	v_add_f16_e32 v119, v119, v123
	v_mul_f16_e32 v123, 0xb853, v10
	v_add_f16_e32 v120, v120, v124
	v_add_f16_e32 v121, v121, v125
	v_fma_f16 v124, v58, s13, v122
	v_fma_f16 v122, v58, s22, v122
	;; [unrolled: 1-line block ×3, first 2 shown]
	v_fma_f16 v123, v55, s10, -v123
	v_mul_f16_e32 v10, 0xba0c, v10
	v_add_f16_e32 v122, v122, v126
	v_mul_f16_e32 v126, 0x3abb, v56
	v_add_f16_e32 v123, v123, v127
	v_fma_f16 v127, v55, s17, v10
	v_mul_f16_e32 v56, 0xb93d, v56
	v_fma_f16 v10, v55, s17, -v10
	v_add_f16_e32 v8, v10, v8
	v_fma_f16 v10, v58, s18, v56
	v_add_f16_e32 v55, v11, v14
	v_sub_f16_e32 v11, v11, v14
	v_add_f16_e32 v9, v10, v9
	v_add_f16_e32 v10, v64, v59
	v_mul_f16_e32 v14, 0xba0c, v11
	v_add_f16_e32 v124, v124, v128
	v_add_f16_e32 v125, v125, v129
	v_fma_f16 v128, v58, s15, v126
	v_fma_f16 v126, v58, s11, v126
	;; [unrolled: 1-line block ×4, first 2 shown]
	v_sub_f16_e32 v56, v64, v59
	v_add_f16_e32 v57, v58, v57
	v_mul_f16_e32 v58, 0xb93d, v55
	v_fma_f16 v14, v10, s17, -v14
	v_add_f16_e32 v14, v14, v15
	v_fma_f16 v15, v56, s18, v58
	v_add_f16_e32 v15, v15, v19
	v_mul_f16_e32 v19, 0x3beb, v11
	v_fma_f16 v59, v56, s24, v58
	v_fma_f16 v58, v10, s14, v19
	v_add_f16_e32 v58, v58, v60
	v_mul_f16_e32 v60, 0xb08e, v55
	v_fma_f16 v19, v10, s14, -v19
	v_add_f16_e32 v59, v59, v63
	v_fma_f16 v63, v56, s16, v60
	v_add_f16_e32 v19, v19, v20
	v_fma_f16 v20, v56, s21, v60
	v_mul_f16_e32 v60, 0xb853, v11
	v_fma_f16 v64, v10, s10, v60
	v_fma_f16 v60, v10, s10, -v60
	v_add_f16_e32 v20, v20, v118
	v_mul_f16_e32 v118, 0x3abb, v55
	v_add_f16_e32 v60, v60, v119
	v_mul_f16_e32 v119, 0xb482, v11
	v_add_f16_e32 v63, v63, v120
	v_add_f16_e32 v64, v64, v121
	v_fma_f16 v120, v56, s15, v118
	v_fma_f16 v118, v56, s11, v118
	;; [unrolled: 1-line block ×3, first 2 shown]
	v_fma_f16 v119, v10, s19, -v119
	v_mul_f16_e32 v11, 0x3b47, v11
	v_add_f16_e32 v118, v118, v122
	v_mul_f16_e32 v122, 0xbbad, v55
	v_add_f16_e32 v119, v119, v123
	v_fma_f16 v123, v10, s12, v11
	v_mul_f16_e32 v55, 0x36a6, v55
	v_fma_f16 v10, v10, s12, -v11
	v_add_f16_e32 v8, v10, v8
	v_fma_f16 v10, v56, s22, v55
	v_add_f16_e32 v11, v12, v13
	v_sub_f16_e32 v12, v12, v13
	v_add_f16_e32 v9, v10, v9
	v_add_f16_e32 v10, v61, v62
	v_mul_f16_e32 v13, 0xb482, v12
	v_add_f16_e32 v120, v120, v124
	v_add_f16_e32 v121, v121, v125
	v_fma_f16 v124, v56, s23, v122
	v_fma_f16 v122, v56, s20, v122
	v_fma_f16 v125, v56, s13, v55
	v_fma_f16 v56, v10, s19, v13
	v_sub_f16_e32 v55, v61, v62
	v_add_f16_e32 v56, v56, v57
	v_mul_f16_e32 v57, 0xbbad, v11
	v_fma_f16 v13, v10, s19, -v13
	v_add_f16_e32 v13, v13, v14
	v_fma_f16 v14, v55, s20, v57
	v_add_f16_e32 v14, v14, v15
	v_mul_f16_e32 v15, 0x3853, v12
	v_fma_f16 v61, v55, s23, v57
	v_fma_f16 v57, v10, s10, v15
	v_add_f16_e32 v57, v57, v58
	v_mul_f16_e32 v58, 0x3abb, v11
	v_fma_f16 v15, v10, s10, -v15
	v_add_f16_e32 v15, v15, v19
	v_fma_f16 v19, v55, s15, v58
	v_add_f16_e32 v19, v19, v20
	v_mul_f16_e32 v20, 0xba0c, v12
	v_add_f16_e32 v59, v61, v59
	v_fma_f16 v61, v55, s11, v58
	v_fma_f16 v58, v10, s17, v20
	v_mul_f16_e32 v62, 0xb93d, v11
	v_fma_f16 v20, v10, s17, -v20
	v_add_f16_e32 v61, v61, v63
	v_fma_f16 v63, v55, s24, v62
	v_add_f16_e32 v20, v20, v60
	v_fma_f16 v60, v55, s18, v62
	v_mul_f16_e32 v62, 0x3b47, v12
	v_add_f16_e32 v58, v58, v64
	v_fma_f16 v64, v10, s12, v62
	v_fma_f16 v62, v10, s12, -v62
	v_mul_f16_e32 v12, 0xbbeb, v12
	v_add_f16_e32 v126, v126, v130
	v_add_f16_e32 v60, v60, v118
	v_mul_f16_e32 v118, 0x36a6, v11
	v_add_f16_e32 v62, v62, v119
	v_fma_f16 v119, v10, s14, v12
	v_mul_f16_e32 v11, 0xb08e, v11
	v_fma_f16 v10, v10, s14, -v12
	v_add_f16_e32 v132, v132, v134
	v_add_f16_e32 v131, v131, v135
	;; [unrolled: 1-line block ×5, first 2 shown]
	v_fma_f16 v120, v55, s13, v118
	v_fma_f16 v118, v55, s22, v118
	v_add_f16_e32 v8, v10, v8
	v_fma_f16 v10, v55, s16, v11
	v_add_f16_e32 v128, v128, v132
	v_add_f16_e32 v127, v127, v131
	;; [unrolled: 1-line block ×9, first 2 shown]
	v_fma_f16 v121, v55, s21, v11
	v_pack_b32_f16 v10, v111, v117
	v_pack_b32_f16 v11, v56, v59
	;; [unrolled: 1-line block ×4, first 2 shown]
	v_add_f16_e32 v120, v120, v124
	v_add_f16_e32 v119, v119, v123
	;; [unrolled: 1-line block ×3, first 2 shown]
	s_barrier
	ds_write2_b32 v88, v10, v11 offset1:6
	v_pack_b32_f16 v10, v57, v61
	v_pack_b32_f16 v11, v58, v63
	ds_write2_b32 v88, v8, v9 offset0:36 offset1:42
	v_pack_b32_f16 v8, v20, v60
	v_pack_b32_f16 v9, v15, v19
	ds_write2_b32 v88, v10, v11 offset0:12 offset1:18
	v_pack_b32_f16 v10, v64, v120
	v_pack_b32_f16 v11, v119, v121
	ds_write2_b32 v88, v8, v9 offset0:48 offset1:54
	v_pack_b32_f16 v8, v13, v14
	ds_write2_b32 v88, v10, v11 offset0:24 offset1:30
	ds_write_b32 v88, v8 offset:240
	s_and_saveexec_b64 s[8:9], s[0:1]
	s_cbranch_execz .LBB0_9
; %bb.8:
	v_lshrrev_b32_e32 v8, 16, v49
	v_mul_f16_sdwa v10, v18, v108 dst_sel:DWORD dst_unused:UNUSED_PAD src0_sel:WORD_1 src1_sel:DWORD
	v_mul_f16_sdwa v13, v18, v107 dst_sel:DWORD dst_unused:UNUSED_PAD src0_sel:WORD_1 src1_sel:DWORD
	;; [unrolled: 1-line block ×3, first 2 shown]
	v_fma_f16 v10, v18, v107, v10
	v_fma_f16 v13, v18, v108, -v13
	v_mul_f16_sdwa v18, v17, v106 dst_sel:DWORD dst_unused:UNUSED_PAD src0_sel:WORD_1 src1_sel:DWORD
	v_fma_f16 v9, v0, v49, v9
	v_mul_f16_sdwa v14, v0, v49 dst_sel:DWORD dst_unused:UNUSED_PAD src0_sel:WORD_1 src1_sel:DWORD
	v_mul_f16_sdwa v15, v1, v114 dst_sel:DWORD dst_unused:UNUSED_PAD src0_sel:WORD_1 src1_sel:DWORD
	v_fma_f16 v18, v17, v22, v18
	v_mul_f16_sdwa v22, v17, v22 dst_sel:DWORD dst_unused:UNUSED_PAD src0_sel:WORD_1 src1_sel:DWORD
	v_sub_f16_e32 v11, v9, v10
	v_fma_f16 v0, v0, v8, -v14
	v_fma_f16 v15, v1, v51, v15
	v_fma_f16 v17, v17, v106, -v22
	v_mul_f16_sdwa v22, v1, v51 dst_sel:DWORD dst_unused:UNUSED_PAD src0_sel:WORD_1 src1_sel:DWORD
	v_mul_f16_e32 v12, 0xb482, v11
	v_add_f16_e32 v8, v13, v0
	v_sub_f16_e32 v19, v15, v18
	v_fma_f16 v1, v1, v114, -v22
	v_fma_f16 v14, v8, s19, v12
	v_mul_f16_e32 v20, 0x3853, v19
	v_add_f16_e32 v22, v17, v1
	v_add_f16_e32 v14, v112, v14
	v_fma_f16 v49, v22, s10, v20
	v_mul_f16_sdwa v51, v7, v105 dst_sel:DWORD dst_unused:UNUSED_PAD src0_sel:WORD_1 src1_sel:DWORD
	v_add_f16_e32 v14, v49, v14
	v_mul_f16_sdwa v49, v2, v113 dst_sel:DWORD dst_unused:UNUSED_PAD src0_sel:WORD_1 src1_sel:DWORD
	v_fma_f16 v51, v7, v21, v51
	v_mul_f16_sdwa v21, v7, v21 dst_sel:DWORD dst_unused:UNUSED_PAD src0_sel:WORD_1 src1_sel:DWORD
	v_fma_f16 v49, v2, v52, v49
	v_fma_f16 v7, v7, v105, -v21
	v_mul_f16_sdwa v21, v2, v52 dst_sel:DWORD dst_unused:UNUSED_PAD src0_sel:WORD_1 src1_sel:DWORD
	v_sub_f16_e32 v55, v49, v51
	v_fma_f16 v2, v2, v113, -v21
	v_mul_f16_e32 v56, 0xba0c, v55
	v_add_f16_e32 v21, v7, v2
	v_fma_f16 v52, v21, s17, v56
	v_add_f16_e32 v14, v52, v14
	v_lshrrev_b32_e32 v52, 16, v48
	v_mul_f16_sdwa v58, v6, v99 dst_sel:DWORD dst_unused:UNUSED_PAD src0_sel:WORD_1 src1_sel:DWORD
	v_mul_f16_sdwa v57, v3, v52 dst_sel:DWORD dst_unused:UNUSED_PAD src0_sel:WORD_1 src1_sel:DWORD
	v_fma_f16 v58, v6, v28, v58
	v_mul_f16_sdwa v28, v6, v28 dst_sel:DWORD dst_unused:UNUSED_PAD src0_sel:WORD_1 src1_sel:DWORD
	v_fma_f16 v57, v3, v48, v57
	v_fma_f16 v6, v6, v99, -v28
	v_mul_f16_sdwa v28, v3, v48 dst_sel:DWORD dst_unused:UNUSED_PAD src0_sel:WORD_1 src1_sel:DWORD
	v_sub_f16_e32 v59, v57, v58
	v_fma_f16 v3, v3, v52, -v28
	v_mul_f16_e32 v60, 0x3b47, v59
	v_add_f16_e32 v28, v6, v3
	v_fma_f16 v48, v28, s12, v60
	v_add_f16_e32 v14, v48, v14
	v_mul_f16_sdwa v48, v4, v115 dst_sel:DWORD dst_unused:UNUSED_PAD src0_sel:WORD_1 src1_sel:DWORD
	v_mul_f16_sdwa v52, v5, v116 dst_sel:DWORD dst_unused:UNUSED_PAD src0_sel:WORD_1 src1_sel:DWORD
	v_fma_f16 v48, v4, v53, v48
	v_fma_f16 v52, v5, v54, v52
	v_mul_f16_sdwa v54, v5, v54 dst_sel:DWORD dst_unused:UNUSED_PAD src0_sel:WORD_1 src1_sel:DWORD
	v_mul_f16_sdwa v53, v4, v53 dst_sel:DWORD dst_unused:UNUSED_PAD src0_sel:WORD_1 src1_sel:DWORD
	v_sub_f16_e32 v61, v48, v52
	v_fma_f16 v5, v5, v116, -v54
	v_fma_f16 v4, v4, v115, -v53
	v_mul_f16_e32 v62, 0xbbeb, v61
	v_add_f16_e32 v53, v5, v4
	v_fma_f16 v54, v53, s14, v62
	v_sub_f16_e32 v63, v0, v13
	v_fma_f16 v12, v8, s19, -v12
	v_add_f16_e32 v14, v54, v14
	v_add_f16_e32 v54, v10, v9
	v_mul_f16_e32 v64, 0xb482, v63
	v_sub_f16_e32 v105, v1, v17
	v_add_f16_e32 v12, v112, v12
	v_fma_f16 v20, v22, s10, -v20
	v_fma_f16 v88, v54, s19, -v64
	v_add_f16_e32 v99, v18, v15
	v_mul_f16_e32 v106, 0x3853, v105
	v_add_f16_e32 v12, v20, v12
	v_fma_f16 v20, v21, s17, -v56
	v_add_f16_e32 v88, v46, v88
	v_fma_f16 v107, v99, s10, -v106
	v_sub_f16_e32 v108, v2, v7
	v_add_f16_e32 v12, v20, v12
	v_fma_f16 v20, v28, s12, -v60
	v_add_f16_e32 v88, v107, v88
	v_add_f16_e32 v107, v51, v49
	v_mul_f16_e32 v111, 0xba0c, v108
	v_add_f16_e32 v12, v20, v12
	v_fma_f16 v20, v53, s14, -v62
	v_fma_f16 v113, v107, s17, -v111
	v_sub_f16_e32 v114, v3, v6
	v_add_f16_e32 v12, v20, v12
	v_fma_f16 v20, v54, s19, v64
	v_add_f16_e32 v88, v113, v88
	v_add_f16_e32 v113, v58, v57
	v_mul_f16_e32 v115, 0x3b47, v114
	v_add_f16_e32 v20, v46, v20
	v_fma_f16 v56, v99, s10, v106
	v_fma_f16 v116, v113, s12, -v115
	v_sub_f16_e32 v117, v4, v5
	v_add_f16_e32 v20, v56, v20
	v_fma_f16 v56, v107, s17, v111
	v_add_f16_e32 v88, v116, v88
	v_add_f16_e32 v116, v52, v48
	v_mul_f16_e32 v118, 0xbbeb, v117
	v_add_f16_e32 v20, v56, v20
	v_fma_f16 v56, v113, s12, v115
	v_add_f16_e32 v20, v56, v20
	v_fma_f16 v56, v116, s14, v118
	v_add_f16_e32 v20, v56, v20
	v_mul_f16_e32 v56, 0xb93d, v8
	v_fma_f16 v60, v11, s24, v56
	v_mul_f16_e32 v62, 0xb08e, v22
	v_add_f16_e32 v60, v112, v60
	v_fma_f16 v64, v19, s16, v62
	v_add_f16_e32 v60, v64, v60
	v_mul_f16_e32 v64, 0x3abb, v21
	v_fma_f16 v106, v55, s15, v64
	v_add_f16_e32 v60, v106, v60
	v_mul_f16_e32 v106, 0xbbad, v28
	;; [unrolled: 3-line block ×3, first 2 shown]
	v_fma_f16 v115, v61, s13, v111
	v_fma_f16 v119, v116, s14, -v118
	v_add_f16_e32 v60, v115, v60
	v_mul_f16_e32 v115, 0xba0c, v63
	v_add_f16_e32 v88, v119, v88
	v_fma_f16 v118, v54, s17, v115
	v_mul_f16_e32 v119, 0x3beb, v105
	v_add_f16_e32 v118, v46, v118
	v_fma_f16 v120, v99, s14, v119
	v_add_f16_e32 v118, v120, v118
	v_mul_f16_e32 v120, 0xb853, v108
	v_fma_f16 v121, v107, s10, v120
	v_add_f16_e32 v118, v121, v118
	v_mul_f16_e32 v121, 0xb482, v114
	;; [unrolled: 3-line block ×4, first 2 shown]
	v_fma_f16 v124, v11, s21, v123
	v_mul_f16_e32 v125, 0xbbad, v22
	v_add_f16_e32 v124, v112, v124
	v_fma_f16 v126, v19, s20, v125
	v_add_f16_e32 v124, v126, v124
	v_mul_f16_e32 v126, 0x36a6, v21
	v_fma_f16 v127, v55, s13, v126
	v_add_f16_e32 v124, v127, v124
	v_mul_f16_e32 v127, 0x3abb, v28
	v_add_f16_e32 v0, v0, v112
	v_fma_f16 v128, v59, s15, v127
	v_add_f16_e32 v0, v1, v0
	v_fma_f16 v1, v11, s18, v56
	v_add_f16_e32 v124, v128, v124
	v_mul_f16_e32 v128, 0xb93d, v53
	v_add_f16_e32 v0, v2, v0
	v_add_f16_e32 v1, v112, v1
	v_fma_f16 v2, v19, s21, v62
	v_fma_f16 v129, v61, s24, v128
	v_add_f16_e32 v1, v2, v1
	v_fma_f16 v2, v55, s11, v64
	v_add_f16_e32 v124, v129, v124
	v_mul_f16_e32 v129, 0xbbeb, v63
	v_add_f16_e32 v1, v2, v1
	v_fma_f16 v2, v59, s20, v106
	v_fma_f16 v130, v54, s14, v129
	v_mul_f16_e32 v131, 0x3482, v105
	v_add_f16_e32 v1, v2, v1
	v_fma_f16 v2, v61, s22, v111
	v_add_f16_e32 v130, v46, v130
	v_fma_f16 v132, v99, s19, v131
	v_add_f16_e32 v1, v2, v1
	v_fma_f16 v2, v54, s17, -v115
	v_add_f16_e32 v130, v132, v130
	v_mul_f16_e32 v132, 0x3b47, v108
	v_add_f16_e32 v0, v3, v0
	v_add_f16_e32 v2, v46, v2
	v_fma_f16 v3, v99, s14, -v119
	v_fma_f16 v133, v107, s12, v132
	v_add_f16_e32 v2, v3, v2
	v_fma_f16 v3, v107, s10, -v120
	v_add_f16_e32 v130, v133, v130
	v_mul_f16_e32 v133, 0xb853, v114
	v_add_f16_e32 v2, v3, v2
	v_fma_f16 v3, v113, s19, -v121
	v_fma_f16 v134, v113, s10, v133
	v_add_f16_e32 v2, v3, v2
	v_fma_f16 v3, v116, s12, -v122
	v_add_f16_e32 v130, v134, v130
	v_mul_f16_e32 v134, 0xba0c, v117
	v_add_f16_e32 v2, v3, v2
	v_fma_f16 v3, v11, s16, v123
	v_fma_f16 v135, v116, s17, v134
	v_add_f16_e32 v0, v4, v0
	v_add_f16_e32 v3, v112, v3
	v_fma_f16 v4, v19, s23, v125
	v_add_f16_e32 v130, v135, v130
	v_mul_f16_e32 v135, 0x36a6, v8
	v_add_f16_e32 v3, v4, v3
	v_fma_f16 v4, v55, s22, v126
	v_fma_f16 v136, v11, s22, v135
	v_mul_f16_e32 v137, 0xb93d, v22
	v_add_f16_e32 v3, v4, v3
	v_fma_f16 v4, v59, s11, v127
	v_add_f16_e32 v136, v112, v136
	v_fma_f16 v138, v19, s24, v137
	;; [unrolled: 2-line block ×3, first 2 shown]
	v_add_f16_e32 v136, v138, v136
	v_mul_f16_e32 v138, 0xbbad, v21
	v_add_f16_e32 v3, v4, v3
	v_fma_f16 v4, v54, s14, -v129
	v_fma_f16 v139, v55, s20, v138
	v_add_f16_e32 v0, v5, v0
	v_add_f16_e32 v4, v46, v4
	v_fma_f16 v5, v99, s19, -v131
	v_add_f16_e32 v136, v139, v136
	v_mul_f16_e32 v139, 0xb08e, v28
	v_add_f16_e32 v4, v5, v4
	v_fma_f16 v5, v107, s12, -v132
	v_fma_f16 v140, v59, s16, v139
	v_add_f16_e32 v4, v5, v4
	v_fma_f16 v5, v113, s10, -v133
	v_add_f16_e32 v136, v140, v136
	v_mul_f16_e32 v140, 0x3abb, v53
	v_add_f16_e32 v4, v5, v4
	v_fma_f16 v5, v116, s17, -v134
	v_fma_f16 v141, v61, s11, v140
	v_add_f16_e32 v4, v5, v4
	v_fma_f16 v5, v11, s13, v135
	v_add_f16_e32 v136, v141, v136
	v_mul_f16_e32 v141, 0xbb47, v63
	v_add_f16_e32 v0, v6, v0
	v_add_f16_e32 v5, v112, v5
	v_fma_f16 v6, v19, s18, v137
	v_fma_f16 v142, v54, s12, v141
	v_mul_f16_e32 v143, 0xba0c, v105
	v_add_f16_e32 v5, v6, v5
	v_fma_f16 v6, v55, s23, v138
	v_add_f16_e32 v142, v46, v142
	v_fma_f16 v144, v99, s17, v143
	v_add_f16_e32 v5, v6, v5
	v_fma_f16 v6, v59, s21, v139
	v_add_f16_e32 v142, v144, v142
	v_mul_f16_e32 v144, 0x3482, v108
	v_add_f16_e32 v5, v6, v5
	v_fma_f16 v6, v61, s15, v140
	v_fma_f16 v145, v107, s19, v144
	v_add_f16_e32 v5, v6, v5
	v_fma_f16 v6, v54, s12, -v141
	v_add_f16_e32 v142, v145, v142
	v_mul_f16_e32 v145, 0x3beb, v114
	v_add_f16_e32 v0, v7, v0
	v_add_f16_e32 v6, v46, v6
	v_fma_f16 v7, v99, s17, -v143
	v_fma_f16 v146, v113, s14, v145
	v_add_f16_e32 v9, v46, v9
	v_add_f16_e32 v6, v7, v6
	v_fma_f16 v7, v107, s19, -v144
	v_add_f16_e32 v142, v146, v142
	v_mul_f16_e32 v146, 0x3853, v117
	v_add_f16_e32 v9, v15, v9
	v_add_f16_e32 v6, v7, v6
	v_fma_f16 v7, v113, s14, -v145
	v_mul_f16_e32 v8, 0x3abb, v8
	v_add_f16_e32 v9, v49, v9
	v_add_f16_e32 v6, v7, v6
	v_fma_f16 v7, v116, s10, -v146
	v_fma_f16 v147, v116, s10, v146
	v_mul_f16_e32 v22, 0x36a6, v22
	v_add_f16_e32 v9, v57, v9
	v_add_f16_e32 v6, v7, v6
	v_fma_f16 v7, v11, s11, v8
	v_add_f16_e32 v142, v147, v142
	v_fma_f16 v147, v11, s15, v8
	v_mul_f16_e32 v21, 0xb08e, v21
	v_add_f16_e32 v9, v48, v9
	v_add_f16_e32 v7, v112, v7
	v_fma_f16 v8, v19, s13, v22
	v_add_f16_e32 v147, v112, v147
	;; [unrolled: 6-line block ×5, first 2 shown]
	v_fma_f16 v148, v61, s23, v53
	v_mul_f16_e32 v105, 0xbb47, v105
	v_add_f16_e32 v9, v18, v9
	v_add_f16_e32 v7, v8, v7
	v_fma_f16 v8, v54, s10, -v63
	v_add_f16_e32 v147, v148, v147
	v_fma_f16 v148, v54, s10, v63
	v_mul_f16_e32 v108, 0xbbeb, v108
	v_add_f16_e32 v9, v10, v9
	v_add_f16_e32 v8, v46, v8
	v_fma_f16 v10, v99, s12, -v105
	v_add_f16_e32 v148, v46, v148
	v_fma_f16 v149, v99, s12, v105
	v_mul_f16_e32 v114, 0xba0c, v114
	v_add_f16_e32 v8, v10, v8
	v_fma_f16 v10, v107, s14, -v108
	v_add_f16_e32 v148, v149, v148
	v_fma_f16 v149, v107, s14, v108
	v_mul_f16_e32 v117, 0xb482, v117
	v_add_f16_e32 v8, v10, v8
	v_fma_f16 v10, v113, s17, -v114
	v_add_f16_e32 v148, v149, v148
	v_fma_f16 v149, v113, s17, v114
	v_add_f16_e32 v8, v10, v8
	v_fma_f16 v10, v116, s19, -v117
	v_add_f16_e32 v148, v149, v148
	v_fma_f16 v149, v116, s19, v117
	v_add_f16_e32 v0, v17, v0
	v_add_f16_e32 v8, v10, v8
	v_mul_u32_u24_e32 v10, 0x42, v86
	v_add_f16_e32 v148, v149, v148
	v_add_f16_e32 v0, v13, v0
	v_add_u32_sdwa v10, v10, v87 dst_sel:DWORD dst_unused:UNUSED_PAD src0_sel:DWORD src1_sel:BYTE_0
	v_lshl_add_u32 v10, v10, 2, v85
	v_pack_b32_f16 v0, v9, v0
	v_pack_b32_f16 v9, v148, v147
	ds_write2_b32 v10, v0, v9 offset1:6
	v_pack_b32_f16 v0, v142, v136
	v_pack_b32_f16 v9, v130, v124
	ds_write2_b32 v10, v0, v9 offset0:12 offset1:18
	v_pack_b32_f16 v0, v118, v60
	v_pack_b32_f16 v9, v20, v12
	ds_write2_b32 v10, v0, v9 offset0:24 offset1:30
	;; [unrolled: 3-line block ×4, first 2 shown]
	v_pack_b32_f16 v0, v8, v7
	ds_write_b32 v10, v0 offset:240
.LBB0_9:
	s_or_b64 exec, exec, s[8:9]
	v_add_u32_e32 v11, 0x800, v84
	s_waitcnt lgkmcnt(0)
	s_barrier
	ds_read2_b32 v[0:1], v84 offset1:66
	ds_read2_b32 v[2:3], v11 offset0:16 offset1:82
	ds_read2_b32 v[4:5], v11 offset0:148 offset1:214
	v_add_u32_e32 v13, 0xc00, v84
	ds_read2_b32 v[8:9], v13 offset0:24 offset1:90
	v_add_u32_e32 v12, 0x400, v84
	s_waitcnt lgkmcnt(2)
	v_lshrrev_b32_e32 v46, 16, v3
	v_mul_f16_sdwa v85, v89, v46 dst_sel:DWORD dst_unused:UNUSED_PAD src0_sel:WORD_1 src1_sel:DWORD
	s_waitcnt lgkmcnt(1)
	v_lshrrev_b32_e32 v49, 16, v4
	v_fma_f16 v85, v89, v3, v85
	v_mul_f16_sdwa v3, v89, v3 dst_sel:DWORD dst_unused:UNUSED_PAD src0_sel:WORD_1 src1_sel:DWORD
	v_fma_f16 v3, v89, v46, -v3
	v_mul_f16_sdwa v46, v89, v49 dst_sel:DWORD dst_unused:UNUSED_PAD src0_sel:WORD_1 src1_sel:DWORD
	v_lshrrev_b32_e32 v52, 16, v5
	v_fma_f16 v46, v89, v4, v46
	v_mul_f16_sdwa v4, v89, v4 dst_sel:DWORD dst_unused:UNUSED_PAD src0_sel:WORD_1 src1_sel:DWORD
	v_fma_f16 v4, v89, v49, -v4
	v_mul_f16_sdwa v49, v90, v52 dst_sel:DWORD dst_unused:UNUSED_PAD src0_sel:WORD_1 src1_sel:DWORD
	ds_read2_b32 v[6:7], v84 offset0:132 offset1:198
	ds_read2_b32 v[14:15], v12 offset0:8 offset1:74
	s_waitcnt lgkmcnt(2)
	v_lshrrev_b32_e32 v54, 16, v8
	ds_read2_b32 v[17:18], v13 offset0:156 offset1:222
	ds_read2_b32 v[19:20], v12 offset0:140 offset1:206
	v_fma_f16 v49, v90, v5, v49
	v_mul_f16_sdwa v5, v90, v5 dst_sel:DWORD dst_unused:UNUSED_PAD src0_sel:WORD_1 src1_sel:DWORD
	v_fma_f16 v5, v90, v52, -v5
	v_mul_f16_sdwa v52, v91, v54 dst_sel:DWORD dst_unused:UNUSED_PAD src0_sel:WORD_1 src1_sel:DWORD
	v_lshrrev_b32_e32 v56, 16, v9
	v_add_u32_e32 v10, 0x1000, v84
	v_fma_f16 v52, v91, v8, v52
	v_mul_f16_sdwa v8, v91, v8 dst_sel:DWORD dst_unused:UNUSED_PAD src0_sel:WORD_1 src1_sel:DWORD
	ds_read2_b32 v[21:22], v10 offset0:32 offset1:98
	v_fma_f16 v8, v91, v54, -v8
	v_mul_f16_sdwa v54, v92, v56 dst_sel:DWORD dst_unused:UNUSED_PAD src0_sel:WORD_1 src1_sel:DWORD
	s_waitcnt lgkmcnt(2)
	v_lshrrev_b32_e32 v58, 16, v17
	v_fma_f16 v54, v92, v9, v54
	v_mul_f16_sdwa v9, v92, v9 dst_sel:DWORD dst_unused:UNUSED_PAD src0_sel:WORD_1 src1_sel:DWORD
	v_fma_f16 v9, v92, v56, -v9
	v_mul_f16_sdwa v56, v93, v58 dst_sel:DWORD dst_unused:UNUSED_PAD src0_sel:WORD_1 src1_sel:DWORD
	v_lshrrev_b32_e32 v60, 16, v18
	v_fma_f16 v56, v93, v17, v56
	v_mul_f16_sdwa v17, v93, v17 dst_sel:DWORD dst_unused:UNUSED_PAD src0_sel:WORD_1 src1_sel:DWORD
	v_fma_f16 v17, v93, v58, -v17
	v_mul_f16_sdwa v58, v94, v60 dst_sel:DWORD dst_unused:UNUSED_PAD src0_sel:WORD_1 src1_sel:DWORD
	s_waitcnt lgkmcnt(0)
	v_lshrrev_b32_e32 v62, 16, v21
	v_fma_f16 v58, v94, v18, v58
	v_mul_f16_sdwa v18, v94, v18 dst_sel:DWORD dst_unused:UNUSED_PAD src0_sel:WORD_1 src1_sel:DWORD
	v_fma_f16 v18, v94, v60, -v18
	v_mul_f16_sdwa v60, v95, v62 dst_sel:DWORD dst_unused:UNUSED_PAD src0_sel:WORD_1 src1_sel:DWORD
	v_lshrrev_b32_e32 v64, 16, v22
	v_fma_f16 v60, v95, v21, v60
	v_mul_f16_sdwa v21, v95, v21 dst_sel:DWORD dst_unused:UNUSED_PAD src0_sel:WORD_1 src1_sel:DWORD
	v_fma_f16 v21, v95, v62, -v21
	v_mul_f16_sdwa v62, v96, v64 dst_sel:DWORD dst_unused:UNUSED_PAD src0_sel:WORD_1 src1_sel:DWORD
	v_lshrrev_b32_e32 v28, 16, v0
	v_fma_f16 v62, v96, v22, v62
	v_mul_f16_sdwa v22, v96, v22 dst_sel:DWORD dst_unused:UNUSED_PAD src0_sel:WORD_1 src1_sel:DWORD
	v_lshrrev_b32_e32 v48, 16, v1
	v_fma_f16 v22, v96, v64, -v22
	v_sub_f16_e32 v64, v0, v85
	v_sub_f16_e32 v3, v28, v3
	v_lshrrev_b32_e32 v51, 16, v6
	v_fma_f16 v0, v0, 2.0, -v64
	v_fma_f16 v28, v28, 2.0, -v3
	v_sub_f16_e32 v46, v1, v46
	v_sub_f16_e32 v4, v48, v4
	v_lshrrev_b32_e32 v53, 16, v7
	v_fma_f16 v1, v1, 2.0, -v46
	v_fma_f16 v48, v48, 2.0, -v4
	v_sub_f16_e32 v49, v6, v49
	v_sub_f16_e32 v5, v51, v5
	v_pack_b32_f16 v0, v0, v28
	v_pack_b32_f16 v3, v64, v3
	v_lshrrev_b32_e32 v55, 16, v14
	v_fma_f16 v6, v6, 2.0, -v49
	v_fma_f16 v51, v51, 2.0, -v5
	v_sub_f16_e32 v52, v7, v52
	v_sub_f16_e32 v8, v53, v8
	s_barrier
	ds_write2_b32 v84, v0, v3 offset1:66
	v_pack_b32_f16 v0, v1, v48
	v_pack_b32_f16 v1, v46, v4
	v_lshrrev_b32_e32 v57, 16, v15
	v_fma_f16 v7, v7, 2.0, -v52
	v_fma_f16 v53, v53, 2.0, -v8
	v_sub_f16_e32 v54, v14, v54
	v_sub_f16_e32 v9, v55, v9
	ds_write2_b32 v84, v0, v1 offset0:132 offset1:198
	v_pack_b32_f16 v0, v6, v51
	v_pack_b32_f16 v1, v49, v5
	v_add_u32_e32 v3, 0x400, v97
	v_lshrrev_b32_e32 v59, 16, v19
	v_fma_f16 v14, v14, 2.0, -v54
	v_fma_f16 v55, v55, 2.0, -v9
	v_sub_f16_e32 v56, v15, v56
	v_sub_f16_e32 v17, v57, v17
	ds_write2_b32 v3, v0, v1 offset0:8 offset1:74
	v_pack_b32_f16 v0, v7, v53
	v_pack_b32_f16 v1, v52, v8
	v_add_u32_e32 v3, 0x400, v98
	;; [unrolled: 9-line block ×4, first 2 shown]
	v_fma_f16 v20, v20, 2.0, -v60
	v_fma_f16 v61, v61, 2.0, -v21
	v_sub_f16_e32 v62, v2, v62
	v_sub_f16_e32 v22, v63, v22
	ds_write2_b32 v3, v0, v1 offset0:148 offset1:214
	v_pack_b32_f16 v0, v19, v59
	v_pack_b32_f16 v1, v58, v18
	v_add_u32_e32 v3, 0xc00, v102
	v_fma_f16 v2, v2, 2.0, -v62
	v_fma_f16 v63, v63, 2.0, -v22
	ds_write2_b32 v3, v0, v1 offset0:24 offset1:90
	v_pack_b32_f16 v0, v20, v61
	v_pack_b32_f16 v1, v60, v21
	v_add_u32_e32 v3, 0xc00, v103
	ds_write2_b32 v3, v0, v1 offset0:156 offset1:222
	v_pack_b32_f16 v0, v2, v63
	v_pack_b32_f16 v1, v62, v22
	v_add_u32_e32 v2, 0x1000, v104
	ds_write2_b32 v2, v0, v1 offset0:32 offset1:98
	s_waitcnt lgkmcnt(0)
	s_barrier
	ds_read2_b32 v[0:1], v84 offset1:66
	ds_read2_b32 v[2:3], v12 offset0:140 offset1:206
	ds_read2_b32 v[4:5], v13 offset0:24 offset1:90
	ds_read2_b32 v[6:7], v84 offset0:132 offset1:198
	ds_read2_b32 v[8:9], v11 offset0:16 offset1:82
	ds_read2_b32 v[14:15], v13 offset0:156 offset1:222
	ds_read2_b32 v[17:18], v12 offset0:8 offset1:74
	ds_read2_b32 v[19:20], v11 offset0:148 offset1:214
	ds_read2_b32 v[21:22], v10 offset0:32 offset1:98
	s_waitcnt lgkmcnt(8)
	v_lshrrev_b32_e32 v28, 16, v0
	s_waitcnt lgkmcnt(7)
	v_lshrrev_b32_e32 v46, 16, v2
	v_mul_f16_sdwa v85, v23, v46 dst_sel:DWORD dst_unused:UNUSED_PAD src0_sel:WORD_1 src1_sel:DWORD
	s_waitcnt lgkmcnt(6)
	v_lshrrev_b32_e32 v48, 16, v4
	v_fma_f16 v85, v23, v2, v85
	v_mul_f16_sdwa v2, v23, v2 dst_sel:DWORD dst_unused:UNUSED_PAD src0_sel:WORD_1 src1_sel:DWORD
	v_fma_f16 v2, v23, v46, -v2
	v_mul_f16_sdwa v46, v24, v48 dst_sel:DWORD dst_unused:UNUSED_PAD src0_sel:WORD_1 src1_sel:DWORD
	v_lshrrev_b32_e32 v51, 16, v3
	v_fma_f16 v46, v24, v4, v46
	v_mul_f16_sdwa v4, v24, v4 dst_sel:DWORD dst_unused:UNUSED_PAD src0_sel:WORD_1 src1_sel:DWORD
	v_fma_f16 v4, v24, v48, -v4
	v_mul_f16_sdwa v48, v25, v51 dst_sel:DWORD dst_unused:UNUSED_PAD src0_sel:WORD_1 src1_sel:DWORD
	v_lshrrev_b32_e32 v52, 16, v5
	v_fma_f16 v48, v25, v3, v48
	v_mul_f16_sdwa v3, v25, v3 dst_sel:DWORD dst_unused:UNUSED_PAD src0_sel:WORD_1 src1_sel:DWORD
	v_fma_f16 v3, v25, v51, -v3
	v_mul_f16_sdwa v51, v26, v52 dst_sel:DWORD dst_unused:UNUSED_PAD src0_sel:WORD_1 src1_sel:DWORD
	s_waitcnt lgkmcnt(4)
	v_lshrrev_b32_e32 v54, 16, v8
	v_fma_f16 v51, v26, v5, v51
	v_mul_f16_sdwa v5, v26, v5 dst_sel:DWORD dst_unused:UNUSED_PAD src0_sel:WORD_1 src1_sel:DWORD
	v_fma_f16 v5, v26, v52, -v5
	v_mul_f16_sdwa v52, v23, v54 dst_sel:DWORD dst_unused:UNUSED_PAD src0_sel:WORD_1 src1_sel:DWORD
	s_waitcnt lgkmcnt(3)
	v_lshrrev_b32_e32 v55, 16, v14
	v_fma_f16 v52, v23, v8, v52
	v_mul_f16_sdwa v8, v23, v8 dst_sel:DWORD dst_unused:UNUSED_PAD src0_sel:WORD_1 src1_sel:DWORD
	v_fma_f16 v8, v23, v54, -v8
	v_mul_f16_sdwa v23, v24, v55 dst_sel:DWORD dst_unused:UNUSED_PAD src0_sel:WORD_1 src1_sel:DWORD
	v_lshrrev_b32_e32 v57, 16, v9
	v_fma_f16 v23, v24, v14, v23
	v_mul_f16_sdwa v14, v24, v14 dst_sel:DWORD dst_unused:UNUSED_PAD src0_sel:WORD_1 src1_sel:DWORD
	v_fma_f16 v14, v24, v55, -v14
	v_mul_f16_sdwa v24, v25, v57 dst_sel:DWORD dst_unused:UNUSED_PAD src0_sel:WORD_1 src1_sel:DWORD
	;; [unrolled: 5-line block ×3, first 2 shown]
	s_waitcnt lgkmcnt(1)
	v_lshrrev_b32_e32 v60, 16, v19
	v_fma_f16 v25, v26, v15, v25
	v_mul_f16_sdwa v15, v26, v15 dst_sel:DWORD dst_unused:UNUSED_PAD src0_sel:WORD_1 src1_sel:DWORD
	v_fma_f16 v15, v26, v58, -v15
	v_mul_f16_sdwa v26, v29, v60 dst_sel:DWORD dst_unused:UNUSED_PAD src0_sel:WORD_1 src1_sel:DWORD
	s_waitcnt lgkmcnt(0)
	v_lshrrev_b32_e32 v61, 16, v21
	v_fma_f16 v26, v29, v19, v26
	v_mul_f16_sdwa v19, v29, v19 dst_sel:DWORD dst_unused:UNUSED_PAD src0_sel:WORD_1 src1_sel:DWORD
	v_fma_f16 v19, v29, v60, -v19
	v_mul_f16_sdwa v29, v30, v61 dst_sel:DWORD dst_unused:UNUSED_PAD src0_sel:WORD_1 src1_sel:DWORD
	v_lshrrev_b32_e32 v63, 16, v20
	v_fma_f16 v29, v30, v21, v29
	v_mul_f16_sdwa v21, v30, v21 dst_sel:DWORD dst_unused:UNUSED_PAD src0_sel:WORD_1 src1_sel:DWORD
	v_fma_f16 v21, v30, v61, -v21
	v_mul_f16_sdwa v30, v31, v63 dst_sel:DWORD dst_unused:UNUSED_PAD src0_sel:WORD_1 src1_sel:DWORD
	;; [unrolled: 5-line block ×3, first 2 shown]
	v_fma_f16 v31, v32, v22, v31
	v_mul_f16_sdwa v22, v32, v22 dst_sel:DWORD dst_unused:UNUSED_PAD src0_sel:WORD_1 src1_sel:DWORD
	v_add_f16_e32 v54, v85, v46
	v_fma_f16 v22, v32, v64, -v22
	v_add_f16_e32 v32, v0, v85
	v_fma_f16 v0, v54, -0.5, v0
	v_sub_f16_e32 v54, v2, v4
	s_mov_b32 s0, 0xbaee
	s_movk_i32 s1, 0x3aee
	v_fma_f16 v55, v54, s0, v0
	v_fma_f16 v0, v54, s1, v0
	v_add_f16_e32 v54, v28, v2
	v_add_f16_e32 v2, v2, v4
	;; [unrolled: 1-line block ×4, first 2 shown]
	v_fma_f16 v2, v2, -0.5, v28
	v_sub_f16_e32 v4, v85, v46
	v_add_f16_e32 v46, v48, v51
	v_lshrrev_b32_e32 v49, 16, v1
	v_fma_f16 v28, v4, s1, v2
	v_fma_f16 v2, v4, s0, v2
	v_add_f16_e32 v4, v1, v48
	v_fma_f16 v1, v46, -0.5, v1
	v_sub_f16_e32 v46, v3, v5
	v_fma_f16 v57, v46, s0, v1
	v_fma_f16 v1, v46, s1, v1
	v_add_f16_e32 v46, v49, v3
	v_add_f16_e32 v3, v3, v5
	;; [unrolled: 1-line block ×3, first 2 shown]
	v_fma_f16 v3, v3, -0.5, v49
	v_sub_f16_e32 v5, v48, v51
	v_add_f16_e32 v49, v52, v23
	v_lshrrev_b32_e32 v53, 16, v6
	v_fma_f16 v48, v5, s1, v3
	v_fma_f16 v3, v5, s0, v3
	v_add_f16_e32 v5, v6, v52
	v_fma_f16 v6, v49, -0.5, v6
	v_sub_f16_e32 v49, v8, v14
	v_add_f16_e32 v4, v4, v51
	v_fma_f16 v51, v49, s0, v6
	v_fma_f16 v6, v49, s1, v6
	v_add_f16_e32 v49, v53, v8
	v_add_f16_e32 v8, v8, v14
	;; [unrolled: 1-line block ×3, first 2 shown]
	v_fma_f16 v8, v8, -0.5, v53
	v_sub_f16_e32 v14, v52, v23
	v_add_f16_e32 v52, v24, v25
	v_lshrrev_b32_e32 v56, 16, v7
	v_add_f16_e32 v5, v5, v23
	v_fma_f16 v23, v14, s1, v8
	v_fma_f16 v8, v14, s0, v8
	v_add_f16_e32 v14, v7, v24
	v_fma_f16 v7, v52, -0.5, v7
	v_sub_f16_e32 v52, v9, v15
	v_fma_f16 v53, v52, s0, v7
	v_fma_f16 v7, v52, s1, v7
	v_add_f16_e32 v52, v56, v9
	v_add_f16_e32 v9, v9, v15
	;; [unrolled: 1-line block ×4, first 2 shown]
	v_fma_f16 v9, v9, -0.5, v56
	v_sub_f16_e32 v15, v24, v25
	v_add_f16_e32 v25, v26, v29
	v_lshrrev_b32_e32 v59, 16, v17
	v_fma_f16 v24, v15, s1, v9
	v_fma_f16 v9, v15, s0, v9
	v_add_f16_e32 v15, v17, v26
	v_fma_f16 v17, v25, -0.5, v17
	v_sub_f16_e32 v25, v19, v21
	v_fma_f16 v56, v25, s0, v17
	v_fma_f16 v17, v25, s1, v17
	v_add_f16_e32 v25, v59, v19
	v_add_f16_e32 v19, v19, v21
	;; [unrolled: 1-line block ×4, first 2 shown]
	v_fma_f16 v19, v19, -0.5, v59
	v_sub_f16_e32 v21, v26, v29
	v_add_f16_e32 v29, v30, v31
	v_lshrrev_b32_e32 v62, 16, v18
	v_fma_f16 v26, v21, s1, v19
	v_fma_f16 v19, v21, s0, v19
	v_add_f16_e32 v21, v18, v30
	v_fma_f16 v18, v29, -0.5, v18
	v_sub_f16_e32 v29, v20, v22
	v_fma_f16 v58, v29, s0, v18
	v_fma_f16 v18, v29, s1, v18
	v_add_f16_e32 v29, v62, v20
	v_add_f16_e32 v20, v20, v22
	;; [unrolled: 1-line block ×3, first 2 shown]
	v_fma_f16 v20, v20, -0.5, v62
	v_sub_f16_e32 v22, v30, v31
	v_pack_b32_f16 v0, v0, v2
	v_pack_b32_f16 v1, v1, v3
	v_fma_f16 v30, v22, s1, v20
	v_fma_f16 v20, v22, s0, v20
	s_barrier
	v_pack_b32_f16 v22, v32, v54
	v_pack_b32_f16 v2, v4, v46
	ds_write2_b32 v12, v0, v1 offset0:8 offset1:74
	v_pack_b32_f16 v0, v5, v49
	v_pack_b32_f16 v3, v14, v52
	;; [unrolled: 1-line block ×3, first 2 shown]
	ds_write2_b32 v84, v22, v2 offset1:66
	v_pack_b32_f16 v2, v57, v48
	v_pack_b32_f16 v1, v51, v23
	ds_write2_b32 v12, v0, v3 offset0:140 offset1:206
	v_pack_b32_f16 v0, v53, v24
	ds_write2_b32 v84, v28, v2 offset0:132 offset1:198
	;; [unrolled: 2-line block ×4, first 2 shown]
	v_pack_b32_f16 v0, v15, v25
	v_pack_b32_f16 v1, v56, v26
	v_add_u32_e32 v2, 0xc00, v109
	v_add_f16_e32 v21, v21, v31
	ds_write2_b32 v2, v0, v1 offset0:24 offset1:156
	v_pack_b32_f16 v0, v17, v19
	ds_write_b32 v109, v0 offset:4224
	v_pack_b32_f16 v0, v21, v29
	v_pack_b32_f16 v1, v58, v30
	v_add_u32_e32 v2, 0xc00, v110
	ds_write2_b32 v2, v0, v1 offset0:24 offset1:156
	v_pack_b32_f16 v0, v18, v20
	ds_write_b32 v110, v0 offset:4224
	s_waitcnt lgkmcnt(0)
	s_barrier
	ds_read2_b32 v[0:1], v84 offset1:66
	ds_read2_b32 v[2:3], v12 offset0:140 offset1:206
	ds_read2_b32 v[4:5], v13 offset0:24 offset1:90
	;; [unrolled: 1-line block ×8, first 2 shown]
	s_waitcnt lgkmcnt(8)
	v_lshrrev_b32_e32 v23, 16, v0
	s_waitcnt lgkmcnt(7)
	v_lshrrev_b32_e32 v24, 16, v2
	v_mul_f16_sdwa v57, v33, v24 dst_sel:DWORD dst_unused:UNUSED_PAD src0_sel:WORD_1 src1_sel:DWORD
	s_waitcnt lgkmcnt(6)
	v_lshrrev_b32_e32 v25, 16, v4
	v_fma_f16 v57, v33, v2, v57
	v_mul_f16_sdwa v2, v33, v2 dst_sel:DWORD dst_unused:UNUSED_PAD src0_sel:WORD_1 src1_sel:DWORD
	v_fma_f16 v2, v33, v24, -v2
	v_mul_f16_sdwa v24, v34, v25 dst_sel:DWORD dst_unused:UNUSED_PAD src0_sel:WORD_1 src1_sel:DWORD
	v_lshrrev_b32_e32 v28, 16, v3
	v_fma_f16 v24, v34, v4, v24
	v_mul_f16_sdwa v4, v34, v4 dst_sel:DWORD dst_unused:UNUSED_PAD src0_sel:WORD_1 src1_sel:DWORD
	v_fma_f16 v4, v34, v25, -v4
	v_mul_f16_sdwa v25, v35, v28 dst_sel:DWORD dst_unused:UNUSED_PAD src0_sel:WORD_1 src1_sel:DWORD
	v_lshrrev_b32_e32 v29, 16, v5
	v_fma_f16 v25, v35, v3, v25
	v_mul_f16_sdwa v3, v35, v3 dst_sel:DWORD dst_unused:UNUSED_PAD src0_sel:WORD_1 src1_sel:DWORD
	v_fma_f16 v3, v35, v28, -v3
	v_mul_f16_sdwa v28, v36, v29 dst_sel:DWORD dst_unused:UNUSED_PAD src0_sel:WORD_1 src1_sel:DWORD
	s_waitcnt lgkmcnt(4)
	v_lshrrev_b32_e32 v31, 16, v8
	v_fma_f16 v28, v36, v5, v28
	v_mul_f16_sdwa v5, v36, v5 dst_sel:DWORD dst_unused:UNUSED_PAD src0_sel:WORD_1 src1_sel:DWORD
	v_fma_f16 v5, v36, v29, -v5
	v_mul_f16_sdwa v29, v37, v31 dst_sel:DWORD dst_unused:UNUSED_PAD src0_sel:WORD_1 src1_sel:DWORD
	s_waitcnt lgkmcnt(3)
	v_lshrrev_b32_e32 v32, 16, v14
	v_fma_f16 v29, v37, v8, v29
	v_mul_f16_sdwa v8, v37, v8 dst_sel:DWORD dst_unused:UNUSED_PAD src0_sel:WORD_1 src1_sel:DWORD
	v_fma_f16 v8, v37, v31, -v8
	v_mul_f16_sdwa v31, v38, v32 dst_sel:DWORD dst_unused:UNUSED_PAD src0_sel:WORD_1 src1_sel:DWORD
	v_lshrrev_b32_e32 v48, 16, v9
	v_fma_f16 v31, v38, v14, v31
	v_mul_f16_sdwa v14, v38, v14 dst_sel:DWORD dst_unused:UNUSED_PAD src0_sel:WORD_1 src1_sel:DWORD
	v_fma_f16 v14, v38, v32, -v14
	v_mul_f16_sdwa v32, v39, v48 dst_sel:DWORD dst_unused:UNUSED_PAD src0_sel:WORD_1 src1_sel:DWORD
	;; [unrolled: 5-line block ×3, first 2 shown]
	v_add_f16_e32 v39, v57, v24
	v_fma_f16 v33, v40, v15, v33
	v_mul_f16_sdwa v15, v40, v15 dst_sel:DWORD dst_unused:UNUSED_PAD src0_sel:WORD_1 src1_sel:DWORD
	v_add_f16_e32 v38, v0, v57
	v_fma_f16 v0, v39, -0.5, v0
	v_sub_f16_e32 v39, v2, v4
	s_waitcnt lgkmcnt(1)
	v_lshrrev_b32_e32 v52, 16, v19
	v_fma_f16 v15, v40, v49, -v15
	v_fma_f16 v40, v39, s0, v0
	v_fma_f16 v0, v39, s1, v0
	v_add_f16_e32 v39, v23, v2
	v_add_f16_e32 v2, v2, v4
	v_mul_f16_sdwa v34, v41, v52 dst_sel:DWORD dst_unused:UNUSED_PAD src0_sel:WORD_1 src1_sel:DWORD
	v_add_f16_e32 v38, v38, v24
	v_add_f16_e32 v39, v39, v4
	v_fma_f16 v2, v2, -0.5, v23
	v_sub_f16_e32 v4, v57, v24
	v_add_f16_e32 v24, v25, v28
	v_lshrrev_b32_e32 v26, 16, v1
	v_fma_f16 v34, v41, v19, v34
	v_mul_f16_sdwa v19, v41, v19 dst_sel:DWORD dst_unused:UNUSED_PAD src0_sel:WORD_1 src1_sel:DWORD
	v_fma_f16 v23, v4, s1, v2
	v_fma_f16 v2, v4, s0, v2
	v_add_f16_e32 v4, v1, v25
	v_fma_f16 v1, v24, -0.5, v1
	v_sub_f16_e32 v24, v3, v5
	v_fma_f16 v19, v41, v52, -v19
	v_fma_f16 v41, v24, s0, v1
	v_fma_f16 v1, v24, s1, v1
	v_add_f16_e32 v24, v26, v3
	v_add_f16_e32 v3, v3, v5
	;; [unrolled: 1-line block ×3, first 2 shown]
	v_fma_f16 v3, v3, -0.5, v26
	v_sub_f16_e32 v5, v25, v28
	v_add_f16_e32 v26, v29, v31
	v_lshrrev_b32_e32 v30, 16, v6
	v_fma_f16 v25, v5, s1, v3
	v_fma_f16 v3, v5, s0, v3
	v_add_f16_e32 v5, v6, v29
	v_fma_f16 v6, v26, -0.5, v6
	v_sub_f16_e32 v26, v8, v14
	v_add_f16_e32 v4, v4, v28
	v_fma_f16 v28, v26, s0, v6
	v_fma_f16 v6, v26, s1, v6
	v_add_f16_e32 v26, v30, v8
	v_add_f16_e32 v8, v8, v14
	s_waitcnt lgkmcnt(0)
	v_lshrrev_b32_e32 v53, 16, v21
	v_add_f16_e32 v26, v26, v14
	v_fma_f16 v8, v8, -0.5, v30
	v_sub_f16_e32 v14, v29, v31
	v_add_f16_e32 v30, v32, v33
	v_lshrrev_b32_e32 v46, 16, v7
	v_mul_f16_sdwa v35, v42, v53 dst_sel:DWORD dst_unused:UNUSED_PAD src0_sel:WORD_1 src1_sel:DWORD
	v_fma_f16 v29, v14, s1, v8
	v_fma_f16 v8, v14, s0, v8
	v_add_f16_e32 v14, v7, v32
	v_fma_f16 v7, v30, -0.5, v7
	v_sub_f16_e32 v30, v9, v15
	v_fma_f16 v35, v42, v21, v35
	v_mul_f16_sdwa v21, v42, v21 dst_sel:DWORD dst_unused:UNUSED_PAD src0_sel:WORD_1 src1_sel:DWORD
	v_add_f16_e32 v5, v5, v31
	v_fma_f16 v31, v30, s0, v7
	v_fma_f16 v7, v30, s1, v7
	v_add_f16_e32 v30, v46, v9
	v_add_f16_e32 v9, v9, v15
	v_lshrrev_b32_e32 v55, 16, v20
	v_lshrrev_b32_e32 v56, 16, v22
	v_fma_f16 v21, v42, v53, -v21
	v_add_f16_e32 v14, v14, v33
	v_add_f16_e32 v30, v30, v15
	v_fma_f16 v9, v9, -0.5, v46
	v_sub_f16_e32 v15, v32, v33
	v_add_f16_e32 v33, v34, v35
	v_lshrrev_b32_e32 v51, 16, v17
	v_mul_f16_sdwa v36, v43, v55 dst_sel:DWORD dst_unused:UNUSED_PAD src0_sel:WORD_1 src1_sel:DWORD
	v_mul_f16_sdwa v37, v44, v56 dst_sel:DWORD dst_unused:UNUSED_PAD src0_sel:WORD_1 src1_sel:DWORD
	v_fma_f16 v32, v15, s1, v9
	v_fma_f16 v9, v15, s0, v9
	v_add_f16_e32 v15, v17, v34
	v_fma_f16 v17, v33, -0.5, v17
	v_sub_f16_e32 v33, v19, v21
	v_pack_b32_f16 v0, v0, v2
	v_pack_b32_f16 v1, v1, v3
	v_fma_f16 v36, v43, v20, v36
	v_mul_f16_sdwa v20, v43, v20 dst_sel:DWORD dst_unused:UNUSED_PAD src0_sel:WORD_1 src1_sel:DWORD
	v_fma_f16 v37, v44, v22, v37
	v_mul_f16_sdwa v22, v44, v22 dst_sel:DWORD dst_unused:UNUSED_PAD src0_sel:WORD_1 src1_sel:DWORD
	v_fma_f16 v42, v33, s0, v17
	v_fma_f16 v17, v33, s1, v17
	v_add_f16_e32 v33, v51, v19
	v_add_f16_e32 v19, v19, v21
	ds_write2_b32 v13, v0, v1 offset0:24 offset1:90
	v_pack_b32_f16 v1, v28, v29
	v_fma_f16 v20, v43, v55, -v20
	v_fma_f16 v22, v44, v56, -v22
	v_add_f16_e32 v15, v15, v35
	v_add_f16_e32 v33, v33, v21
	v_fma_f16 v19, v19, -0.5, v51
	v_sub_f16_e32 v21, v34, v35
	v_add_f16_e32 v35, v36, v37
	ds_write_b32 v50, v1 offset:1584
	v_pack_b32_f16 v1, v6, v8
	v_lshrrev_b32_e32 v54, 16, v18
	v_fma_f16 v34, v21, s1, v19
	v_fma_f16 v19, v21, s0, v19
	v_add_f16_e32 v21, v18, v36
	v_fma_f16 v18, v35, -0.5, v18
	v_sub_f16_e32 v35, v20, v22
	v_pack_b32_f16 v0, v5, v26
	ds_write_b32 v50, v1 offset:3168
	v_pack_b32_f16 v1, v14, v30
	v_fma_f16 v43, v35, s0, v18
	v_fma_f16 v18, v35, s1, v18
	v_add_f16_e32 v35, v54, v20
	v_add_f16_e32 v20, v20, v22
	ds_write2_b32 v84, v0, v1 offset0:132 offset1:198
	v_pack_b32_f16 v0, v31, v32
	v_pack_b32_f16 v1, v42, v34
	v_add_f16_e32 v21, v21, v37
	v_add_f16_e32 v35, v35, v22
	v_fma_f16 v20, v20, -0.5, v54
	v_sub_f16_e32 v22, v36, v37
	ds_write_b32 v47, v0 offset:1584
	v_pack_b32_f16 v0, v7, v9
	ds_write_b32 v45, v1 offset:1584
	v_pack_b32_f16 v1, v17, v19
	v_fma_f16 v36, v22, s1, v20
	ds_write_b32 v47, v0 offset:3168
	v_pack_b32_f16 v0, v15, v33
	ds_write_b32 v45, v1 offset:3168
	v_pack_b32_f16 v1, v21, v35
	v_fma_f16 v20, v22, s0, v20
	v_pack_b32_f16 v22, v38, v39
	v_pack_b32_f16 v2, v4, v24
	ds_write2_b32 v12, v0, v1 offset0:8 offset1:74
	v_pack_b32_f16 v0, v43, v36
	v_pack_b32_f16 v23, v40, v23
	ds_write2_b32 v84, v22, v2 offset1:66
	v_pack_b32_f16 v2, v41, v25
	ds_write_b32 v27, v0 offset:1584
	v_pack_b32_f16 v0, v18, v20
	ds_write2_b32 v12, v23, v2 offset0:140 offset1:206
	ds_write_b32 v27, v0 offset:3168
	s_waitcnt lgkmcnt(0)
	s_barrier
	ds_read2_b32 v[3:4], v84 offset1:66
	s_mov_b32 s8, 0x2b18ff23
	s_mov_b32 s9, 0x3f4b951e
	v_mad_u64_u32 v[5:6], s[0:1], s6, v16, 0
	s_waitcnt lgkmcnt(0)
	v_lshrrev_b32_e32 v8, 16, v3
	v_mul_f16_sdwa v0, v83, v8 dst_sel:DWORD dst_unused:UNUSED_PAD src0_sel:WORD_1 src1_sel:DWORD
	v_fma_f16 v0, v83, v3, v0
	v_cvt_f32_f16_e32 v0, v0
	s_movk_i32 s6, 0x1ff
	v_mov_b32_e32 v2, v6
	v_mad_u64_u32 v[6:7], s[0:1], s7, v16, v[2:3]
	v_cvt_f64_f32_e32 v[0:1], v0
	s_movk_i32 s7, 0xffe
	v_mul_f16_sdwa v3, v83, v3 dst_sel:DWORD dst_unused:UNUSED_PAD src0_sel:WORD_1 src1_sel:DWORD
	v_fma_f16 v3, v83, v8, -v3
	v_mul_f64 v[0:1], v[0:1], s[8:9]
	v_cvt_f32_f16_e32 v3, v3
	s_movk_i32 s10, 0x40f
	s_mov_b32 s11, 0x8000
	v_lshlrev_b64 v[5:6], 2, v[5:6]
	v_and_or_b32 v0, v1, s6, v0
	v_cmp_ne_u32_e32 vcc, 0, v0
	v_cndmask_b32_e64 v0, 0, 1, vcc
	v_lshrrev_b32_e32 v2, 8, v1
	v_bfe_u32 v7, v1, 20, 11
	v_and_or_b32 v0, v2, s7, v0
	v_sub_u32_e32 v9, 0x3f1, v7
	v_or_b32_e32 v2, 0x1000, v0
	v_med3_i32 v9, v9, 0, 13
	v_lshrrev_b32_e32 v14, v9, v2
	v_lshlrev_b32_e32 v9, v9, v14
	v_cmp_ne_u32_e32 vcc, v9, v2
	v_cndmask_b32_e64 v2, 0, 1, vcc
	v_add_u32_e32 v7, 0xfffffc10, v7
	v_or_b32_e32 v2, v14, v2
	v_lshl_or_b32 v9, v7, 12, v0
	v_cmp_gt_i32_e32 vcc, 1, v7
	v_cndmask_b32_e32 v2, v9, v2, vcc
	v_and_b32_e32 v9, 7, v2
	v_cmp_lt_i32_e32 vcc, 5, v9
	v_cmp_eq_u32_e64 s[0:1], 3, v9
	v_lshrrev_b32_e32 v2, 2, v2
	s_or_b64 vcc, s[0:1], vcc
	v_addc_co_u32_e32 v8, vcc, 0, v2, vcc
	v_cvt_f64_f32_e32 v[2:3], v3
	v_mov_b32_e32 v9, 0x7c00
	v_cmp_gt_i32_e32 vcc, 31, v7
	v_cndmask_b32_e32 v8, v9, v8, vcc
	v_mul_f64 v[2:3], v[2:3], s[8:9]
	v_cmp_ne_u32_e32 vcc, 0, v0
	v_cndmask_b32_e64 v0, 0, 1, vcc
	v_lshl_or_b32 v0, v0, 9, v9
	v_cmp_eq_u32_e32 vcc, s10, v7
	v_cndmask_b32_e32 v0, v8, v0, vcc
	v_lshrrev_b32_e32 v1, 16, v1
	v_and_or_b32 v14, v1, s11, v0
	v_and_or_b32 v0, v3, s6, v2
	v_cmp_ne_u32_e32 vcc, 0, v0
	v_cndmask_b32_e64 v0, 0, 1, vcc
	v_lshrrev_b32_e32 v1, 8, v3
	v_bfe_u32 v2, v3, 20, 11
	v_and_or_b32 v0, v1, s7, v0
	v_sub_u32_e32 v7, 0x3f1, v2
	v_or_b32_e32 v1, 0x1000, v0
	v_med3_i32 v7, v7, 0, 13
	v_lshrrev_b32_e32 v8, v7, v1
	v_lshlrev_b32_e32 v7, v7, v8
	v_cmp_ne_u32_e32 vcc, v7, v1
	v_cndmask_b32_e64 v1, 0, 1, vcc
	v_add_u32_e32 v2, 0xfffffc10, v2
	v_or_b32_e32 v1, v8, v1
	v_lshl_or_b32 v7, v2, 12, v0
	v_cmp_gt_i32_e32 vcc, 1, v2
	v_cndmask_b32_e32 v1, v7, v1, vcc
	v_and_b32_e32 v7, 7, v1
	v_cmp_lt_i32_e32 vcc, 5, v7
	v_cmp_eq_u32_e64 s[0:1], 3, v7
	v_lshrrev_b32_e32 v1, 2, v1
	s_or_b64 vcc, s[0:1], vcc
	v_addc_co_u32_e32 v1, vcc, 0, v1, vcc
	v_cmp_gt_i32_e32 vcc, 31, v2
	v_cndmask_b32_e32 v1, v9, v1, vcc
	v_cmp_ne_u32_e32 vcc, 0, v0
	v_cndmask_b32_e64 v0, 0, 1, vcc
	v_lshl_or_b32 v0, v0, 9, v9
	v_cmp_eq_u32_e32 vcc, s10, v2
	v_mad_u64_u32 v[7:8], s[0:1], s4, v82, 0
	v_cndmask_b32_e32 v15, v1, v0, vcc
	ds_read2_b32 v[0:1], v84 offset0:132 offset1:198
	v_mov_b32_e32 v2, v8
	v_lshrrev_b32_e32 v16, 16, v3
	v_mad_u64_u32 v[2:3], s[0:1], s5, v82, v[2:3]
	s_waitcnt lgkmcnt(0)
	v_lshrrev_b32_e32 v17, 16, v1
	v_mul_f16_sdwa v3, v81, v17 dst_sel:DWORD dst_unused:UNUSED_PAD src0_sel:WORD_1 src1_sel:DWORD
	v_fma_f16 v3, v81, v1, v3
	v_cvt_f32_f16_e32 v3, v3
	v_mov_b32_e32 v8, v2
	v_and_or_b32 v15, v16, s11, v15
	v_and_b32_e32 v14, 0xffff, v14
	v_cvt_f64_f32_e32 v[2:3], v3
	v_lshl_or_b32 v14, v15, 16, v14
	v_mov_b32_e32 v15, s3
	v_add_co_u32_e32 v16, vcc, s2, v5
	v_mul_f64 v[2:3], v[2:3], s[8:9]
	v_addc_co_u32_e32 v15, vcc, v15, v6, vcc
	v_lshlrev_b64 v[5:6], 2, v[7:8]
	v_mul_f16_sdwa v1, v81, v1 dst_sel:DWORD dst_unused:UNUSED_PAD src0_sel:WORD_1 src1_sel:DWORD
	v_add_co_u32_e32 v7, vcc, v16, v5
	v_addc_co_u32_e32 v8, vcc, v15, v6, vcc
	v_and_or_b32 v2, v3, s6, v2
	v_cmp_ne_u32_e32 vcc, 0, v2
	v_cndmask_b32_e64 v2, 0, 1, vcc
	v_lshrrev_b32_e32 v5, 8, v3
	v_bfe_u32 v6, v3, 20, 11
	global_store_dword v[7:8], v14, off
	v_and_or_b32 v5, v5, s7, v2
	v_sub_u32_e32 v14, 0x3f1, v6
	v_or_b32_e32 v2, 0x1000, v5
	v_med3_i32 v14, v14, 0, 13
	v_lshrrev_b32_e32 v15, v14, v2
	v_lshlrev_b32_e32 v14, v14, v15
	v_cmp_ne_u32_e32 vcc, v14, v2
	v_fma_f16 v1, v81, v17, -v1
	v_cndmask_b32_e64 v2, 0, 1, vcc
	v_add_u32_e32 v6, 0xfffffc10, v6
	v_cvt_f32_f16_e32 v1, v1
	v_or_b32_e32 v2, v15, v2
	v_lshl_or_b32 v14, v6, 12, v5
	v_cmp_gt_i32_e32 vcc, 1, v6
	v_cndmask_b32_e32 v2, v14, v2, vcc
	v_and_b32_e32 v14, 7, v2
	v_cmp_lt_i32_e32 vcc, 5, v14
	v_cmp_eq_u32_e64 s[0:1], 3, v14
	v_lshrrev_b32_e32 v14, 2, v2
	v_cvt_f64_f32_e32 v[1:2], v1
	s_or_b64 vcc, s[0:1], vcc
	v_addc_co_u32_e32 v14, vcc, 0, v14, vcc
	v_mul_f64 v[1:2], v[1:2], s[8:9]
	v_cmp_gt_i32_e32 vcc, 31, v6
	v_cndmask_b32_e32 v14, v9, v14, vcc
	v_cmp_ne_u32_e32 vcc, 0, v5
	v_cndmask_b32_e64 v5, 0, 1, vcc
	v_lshl_or_b32 v5, v5, 9, v9
	v_cmp_eq_u32_e32 vcc, s10, v6
	v_cndmask_b32_e32 v5, v14, v5, vcc
	v_and_or_b32 v1, v2, s6, v1
	v_lshrrev_b32_e32 v3, 16, v3
	v_cmp_ne_u32_e32 vcc, 0, v1
	v_and_or_b32 v3, v3, s11, v5
	v_cndmask_b32_e64 v1, 0, 1, vcc
	v_lshrrev_b32_e32 v5, 8, v2
	v_bfe_u32 v6, v2, 20, 11
	v_and_or_b32 v1, v5, s7, v1
	v_sub_u32_e32 v14, 0x3f1, v6
	v_or_b32_e32 v5, 0x1000, v1
	v_med3_i32 v14, v14, 0, 13
	v_lshrrev_b32_e32 v15, v14, v5
	v_lshlrev_b32_e32 v14, v14, v15
	v_cmp_ne_u32_e32 vcc, v14, v5
	v_cndmask_b32_e64 v5, 0, 1, vcc
	v_add_u32_e32 v14, 0xfffffc10, v6
	v_or_b32_e32 v5, v15, v5
	v_lshl_or_b32 v6, v14, 12, v1
	v_cmp_gt_i32_e32 vcc, 1, v14
	v_cndmask_b32_e32 v5, v6, v5, vcc
	v_and_b32_e32 v6, 7, v5
	v_cmp_lt_i32_e32 vcc, 5, v6
	v_cmp_eq_u32_e64 s[0:1], 3, v6
	v_lshrrev_b32_e32 v5, 2, v5
	s_or_b64 vcc, s[0:1], vcc
	v_addc_co_u32_e32 v5, vcc, 0, v5, vcc
	v_cmp_gt_i32_e32 vcc, 31, v14
	v_cndmask_b32_e32 v15, v9, v5, vcc
	ds_read2_b32 v[5:6], v12 offset0:140 offset1:206
	v_cmp_ne_u32_e32 vcc, 0, v1
	v_cndmask_b32_e64 v1, 0, 1, vcc
	v_lshl_or_b32 v1, v1, 9, v9
	v_cmp_eq_u32_e32 vcc, s10, v14
	s_waitcnt lgkmcnt(0)
	v_lshrrev_b32_e32 v14, 16, v5
	v_cndmask_b32_e32 v1, v15, v1, vcc
	v_mul_f16_sdwa v15, v80, v14 dst_sel:DWORD dst_unused:UNUSED_PAD src0_sel:WORD_1 src1_sel:DWORD
	v_fma_f16 v15, v80, v5, v15
	v_cvt_f32_f16_e32 v15, v15
	v_lshrrev_b32_e32 v2, 16, v2
	v_and_or_b32 v1, v2, s11, v1
	v_and_b32_e32 v2, 0xffff, v3
	v_lshl_or_b32 v3, v1, 16, v2
	v_cvt_f64_f32_e32 v[1:2], v15
	s_mul_i32 s0, s5, 0x318
	s_mul_hi_u32 s2, s4, 0x318
	s_add_i32 s2, s2, s0
	v_mul_f64 v[1:2], v[1:2], s[8:9]
	s_mul_i32 s3, s4, 0x318
	v_mov_b32_e32 v15, s2
	v_add_co_u32_e32 v7, vcc, s3, v7
	v_addc_co_u32_e32 v8, vcc, v8, v15, vcc
	global_store_dword v[7:8], v3, off
	v_and_or_b32 v1, v2, s6, v1
	v_cmp_ne_u32_e32 vcc, 0, v1
	v_cndmask_b32_e64 v1, 0, 1, vcc
	v_lshrrev_b32_e32 v3, 8, v2
	v_bfe_u32 v15, v2, 20, 11
	v_and_or_b32 v1, v3, s7, v1
	v_sub_u32_e32 v16, 0x3f1, v15
	v_or_b32_e32 v3, 0x1000, v1
	v_med3_i32 v16, v16, 0, 13
	v_lshrrev_b32_e32 v17, v16, v3
	v_lshlrev_b32_e32 v16, v16, v17
	v_mul_f16_sdwa v5, v80, v5 dst_sel:DWORD dst_unused:UNUSED_PAD src0_sel:WORD_1 src1_sel:DWORD
	v_cmp_ne_u32_e32 vcc, v16, v3
	v_fma_f16 v5, v80, v14, -v5
	v_cndmask_b32_e64 v3, 0, 1, vcc
	v_add_u32_e32 v16, 0xfffffc10, v15
	v_cvt_f32_f16_e32 v5, v5
	v_or_b32_e32 v3, v17, v3
	v_lshl_or_b32 v15, v16, 12, v1
	v_cmp_gt_i32_e32 vcc, 1, v16
	v_cndmask_b32_e32 v3, v15, v3, vcc
	v_and_b32_e32 v15, 7, v3
	v_cmp_lt_i32_e32 vcc, 5, v15
	v_cmp_eq_u32_e64 s[0:1], 3, v15
	v_cvt_f64_f32_e32 v[14:15], v5
	v_lshrrev_b32_e32 v3, 2, v3
	s_or_b64 vcc, s[0:1], vcc
	v_addc_co_u32_e32 v3, vcc, 0, v3, vcc
	v_mul_f64 v[14:15], v[14:15], s[8:9]
	v_cmp_gt_i32_e32 vcc, 31, v16
	v_cndmask_b32_e32 v3, v9, v3, vcc
	v_cmp_ne_u32_e32 vcc, 0, v1
	v_cndmask_b32_e64 v1, 0, 1, vcc
	v_lshl_or_b32 v1, v1, 9, v9
	v_cmp_eq_u32_e32 vcc, s10, v16
	v_cndmask_b32_e32 v1, v3, v1, vcc
	v_lshrrev_b32_e32 v2, 16, v2
	v_and_or_b32 v3, v2, s11, v1
	v_and_or_b32 v1, v15, s6, v14
	v_cmp_ne_u32_e32 vcc, 0, v1
	v_cndmask_b32_e64 v1, 0, 1, vcc
	v_lshrrev_b32_e32 v2, 8, v15
	v_and_or_b32 v5, v2, s7, v1
	v_bfe_u32 v2, v15, 20, 11
	v_sub_u32_e32 v14, 0x3f1, v2
	v_or_b32_e32 v1, 0x1000, v5
	v_med3_i32 v14, v14, 0, 13
	v_lshrrev_b32_e32 v16, v14, v1
	v_lshlrev_b32_e32 v14, v14, v16
	v_cmp_ne_u32_e32 vcc, v14, v1
	v_cndmask_b32_e64 v1, 0, 1, vcc
	v_add_u32_e32 v14, 0xfffffc10, v2
	v_or_b32_e32 v1, v16, v1
	v_lshl_or_b32 v2, v14, 12, v5
	v_cmp_gt_i32_e32 vcc, 1, v14
	v_cndmask_b32_e32 v1, v2, v1, vcc
	v_and_b32_e32 v2, 7, v1
	v_cmp_lt_i32_e32 vcc, 5, v2
	v_cmp_eq_u32_e64 s[0:1], 3, v2
	v_lshrrev_b32_e32 v1, 2, v1
	s_or_b64 vcc, s[0:1], vcc
	v_addc_co_u32_e32 v16, vcc, 0, v1, vcc
	ds_read2_b32 v[1:2], v11 offset0:16 offset1:82
	v_cmp_gt_i32_e32 vcc, 31, v14
	v_cndmask_b32_e32 v16, v9, v16, vcc
	v_cmp_ne_u32_e32 vcc, 0, v5
	v_cndmask_b32_e64 v5, 0, 1, vcc
	s_waitcnt lgkmcnt(0)
	v_lshrrev_b32_e32 v18, 16, v2
	v_mul_f16_sdwa v17, v79, v18 dst_sel:DWORD dst_unused:UNUSED_PAD src0_sel:WORD_1 src1_sel:DWORD
	v_fma_f16 v17, v79, v2, v17
	v_cvt_f32_f16_e32 v17, v17
	v_lshl_or_b32 v5, v5, 9, v9
	v_cmp_eq_u32_e32 vcc, s10, v14
	v_cndmask_b32_e32 v5, v16, v5, vcc
	v_cvt_f64_f32_e32 v[16:17], v17
	v_lshrrev_b32_e32 v14, 16, v15
	v_and_or_b32 v5, v14, s11, v5
	v_and_b32_e32 v3, 0xffff, v3
	v_mul_f64 v[14:15], v[16:17], s[8:9]
	v_lshl_or_b32 v3, v5, 16, v3
	v_mov_b32_e32 v5, s2
	v_add_co_u32_e32 v16, vcc, s3, v7
	v_addc_co_u32_e32 v17, vcc, v8, v5, vcc
	global_store_dword v[16:17], v3, off
	v_and_or_b32 v3, v15, s6, v14
	v_cmp_ne_u32_e32 vcc, 0, v3
	v_cndmask_b32_e64 v3, 0, 1, vcc
	v_lshrrev_b32_e32 v5, 8, v15
	v_bfe_u32 v7, v15, 20, 11
	v_and_or_b32 v5, v5, s7, v3
	v_sub_u32_e32 v8, 0x3f1, v7
	v_or_b32_e32 v3, 0x1000, v5
	v_med3_i32 v8, v8, 0, 13
	v_lshrrev_b32_e32 v14, v8, v3
	v_lshlrev_b32_e32 v8, v8, v14
	v_mul_f16_sdwa v2, v79, v2 dst_sel:DWORD dst_unused:UNUSED_PAD src0_sel:WORD_1 src1_sel:DWORD
	v_cmp_ne_u32_e32 vcc, v8, v3
	v_fma_f16 v2, v79, v18, -v2
	v_cndmask_b32_e64 v3, 0, 1, vcc
	v_add_u32_e32 v7, 0xfffffc10, v7
	v_cvt_f32_f16_e32 v2, v2
	v_or_b32_e32 v3, v14, v3
	v_lshl_or_b32 v8, v7, 12, v5
	v_cmp_gt_i32_e32 vcc, 1, v7
	v_cndmask_b32_e32 v3, v8, v3, vcc
	v_and_b32_e32 v8, 7, v3
	v_cmp_lt_i32_e32 vcc, 5, v8
	v_cmp_eq_u32_e64 s[0:1], 3, v8
	v_lshrrev_b32_e32 v8, 2, v3
	v_cvt_f64_f32_e32 v[2:3], v2
	s_or_b64 vcc, s[0:1], vcc
	v_addc_co_u32_e32 v8, vcc, 0, v8, vcc
	v_mul_f64 v[2:3], v[2:3], s[8:9]
	v_cmp_gt_i32_e32 vcc, 31, v7
	v_cndmask_b32_e32 v8, v9, v8, vcc
	v_cmp_ne_u32_e32 vcc, 0, v5
	v_cndmask_b32_e64 v5, 0, 1, vcc
	v_lshl_or_b32 v5, v5, 9, v9
	v_cmp_eq_u32_e32 vcc, s10, v7
	v_cndmask_b32_e32 v5, v8, v5, vcc
	v_and_or_b32 v2, v3, s6, v2
	v_lshrrev_b32_e32 v7, 16, v15
	v_cmp_ne_u32_e32 vcc, 0, v2
	v_and_or_b32 v5, v7, s11, v5
	v_cndmask_b32_e64 v2, 0, 1, vcc
	v_lshrrev_b32_e32 v7, 8, v3
	v_bfe_u32 v8, v3, 20, 11
	v_and_or_b32 v2, v7, s7, v2
	v_sub_u32_e32 v14, 0x3f1, v8
	v_or_b32_e32 v7, 0x1000, v2
	v_med3_i32 v14, v14, 0, 13
	v_lshrrev_b32_e32 v15, v14, v7
	v_lshlrev_b32_e32 v14, v14, v15
	v_cmp_ne_u32_e32 vcc, v14, v7
	v_cndmask_b32_e64 v7, 0, 1, vcc
	v_add_u32_e32 v14, 0xfffffc10, v8
	v_or_b32_e32 v7, v15, v7
	v_lshl_or_b32 v8, v14, 12, v2
	v_cmp_gt_i32_e32 vcc, 1, v14
	v_cndmask_b32_e32 v7, v8, v7, vcc
	v_and_b32_e32 v8, 7, v7
	v_cmp_lt_i32_e32 vcc, 5, v8
	v_cmp_eq_u32_e64 s[0:1], 3, v8
	v_lshrrev_b32_e32 v7, 2, v7
	s_or_b64 vcc, s[0:1], vcc
	v_addc_co_u32_e32 v15, vcc, 0, v7, vcc
	ds_read2_b32 v[7:8], v13 offset0:24 offset1:90
	v_cmp_gt_i32_e32 vcc, 31, v14
	v_cndmask_b32_e32 v15, v9, v15, vcc
	v_cmp_ne_u32_e32 vcc, 0, v2
	v_cndmask_b32_e64 v2, 0, 1, vcc
	s_waitcnt lgkmcnt(0)
	v_lshrrev_b32_e32 v18, 16, v7
	v_mul_f16_sdwa v19, v78, v18 dst_sel:DWORD dst_unused:UNUSED_PAD src0_sel:WORD_1 src1_sel:DWORD
	v_fma_f16 v19, v78, v7, v19
	v_cvt_f32_f16_e32 v19, v19
	v_lshl_or_b32 v2, v2, 9, v9
	v_cmp_eq_u32_e32 vcc, s10, v14
	v_cndmask_b32_e32 v2, v15, v2, vcc
	v_cvt_f64_f32_e32 v[14:15], v19
	v_lshrrev_b32_e32 v3, 16, v3
	v_and_or_b32 v19, v3, s11, v2
	v_and_b32_e32 v5, 0xffff, v5
	v_mul_f64 v[2:3], v[14:15], s[8:9]
	v_mov_b32_e32 v15, s2
	v_add_co_u32_e32 v14, vcc, s3, v16
	v_addc_co_u32_e32 v15, vcc, v17, v15, vcc
	v_lshl_or_b32 v5, v19, 16, v5
	global_store_dword v[14:15], v5, off
	v_and_or_b32 v2, v3, s6, v2
	v_cmp_ne_u32_e32 vcc, 0, v2
	v_cndmask_b32_e64 v2, 0, 1, vcc
	v_lshrrev_b32_e32 v5, 8, v3
	v_bfe_u32 v16, v3, 20, 11
	v_and_or_b32 v2, v5, s7, v2
	v_sub_u32_e32 v17, 0x3f1, v16
	v_or_b32_e32 v5, 0x1000, v2
	v_med3_i32 v17, v17, 0, 13
	v_lshrrev_b32_e32 v19, v17, v5
	v_lshlrev_b32_e32 v17, v17, v19
	v_cmp_ne_u32_e32 vcc, v17, v5
	v_mul_f16_sdwa v7, v78, v7 dst_sel:DWORD dst_unused:UNUSED_PAD src0_sel:WORD_1 src1_sel:DWORD
	v_cndmask_b32_e64 v5, 0, 1, vcc
	v_fma_f16 v7, v78, v18, -v7
	v_or_b32_e32 v5, v19, v5
	v_add_u32_e32 v19, 0xfffffc10, v16
	v_cvt_f32_f16_e32 v7, v7
	v_lshl_or_b32 v16, v19, 12, v2
	v_cmp_gt_i32_e32 vcc, 1, v19
	v_cndmask_b32_e32 v5, v16, v5, vcc
	v_and_b32_e32 v16, 7, v5
	v_cmp_lt_i32_e32 vcc, 5, v16
	v_cmp_eq_u32_e64 s[0:1], 3, v16
	v_cvt_f64_f32_e32 v[16:17], v7
	v_lshrrev_b32_e32 v5, 2, v5
	s_or_b64 vcc, s[0:1], vcc
	v_addc_co_u32_e32 v5, vcc, 0, v5, vcc
	v_mul_f64 v[16:17], v[16:17], s[8:9]
	v_cmp_gt_i32_e32 vcc, 31, v19
	v_cndmask_b32_e32 v5, v9, v5, vcc
	v_cmp_ne_u32_e32 vcc, 0, v2
	v_cndmask_b32_e64 v2, 0, 1, vcc
	v_lshl_or_b32 v2, v2, 9, v9
	v_cmp_eq_u32_e32 vcc, s10, v19
	v_cndmask_b32_e32 v2, v5, v2, vcc
	v_lshrrev_b32_e32 v3, 16, v3
	v_and_or_b32 v5, v3, s11, v2
	v_and_or_b32 v2, v17, s6, v16
	v_cmp_ne_u32_e32 vcc, 0, v2
	v_cndmask_b32_e64 v2, 0, 1, vcc
	v_lshrrev_b32_e32 v3, 8, v17
	v_and_or_b32 v7, v3, s7, v2
	v_bfe_u32 v3, v17, 20, 11
	v_sub_u32_e32 v16, 0x3f1, v3
	v_or_b32_e32 v2, 0x1000, v7
	v_med3_i32 v16, v16, 0, 13
	v_lshrrev_b32_e32 v18, v16, v2
	v_lshlrev_b32_e32 v16, v16, v18
	v_cmp_ne_u32_e32 vcc, v16, v2
	v_cndmask_b32_e64 v2, 0, 1, vcc
	v_add_u32_e32 v16, 0xfffffc10, v3
	v_or_b32_e32 v2, v18, v2
	v_lshl_or_b32 v3, v16, 12, v7
	v_cmp_gt_i32_e32 vcc, 1, v16
	v_cndmask_b32_e32 v2, v3, v2, vcc
	v_and_b32_e32 v3, 7, v2
	v_cmp_lt_i32_e32 vcc, 5, v3
	v_cmp_eq_u32_e64 s[0:1], 3, v3
	v_lshrrev_b32_e32 v2, 2, v2
	s_or_b64 vcc, s[0:1], vcc
	v_addc_co_u32_e32 v18, vcc, 0, v2, vcc
	ds_read2_b32 v[2:3], v13 offset0:156 offset1:222
	v_cmp_gt_i32_e32 vcc, 31, v16
	v_cndmask_b32_e32 v13, v9, v18, vcc
	v_cmp_ne_u32_e32 vcc, 0, v7
	v_cndmask_b32_e64 v7, 0, 1, vcc
	s_waitcnt lgkmcnt(0)
	v_lshrrev_b32_e32 v20, 16, v3
	v_mul_f16_sdwa v18, v77, v20 dst_sel:DWORD dst_unused:UNUSED_PAD src0_sel:WORD_1 src1_sel:DWORD
	v_fma_f16 v18, v77, v3, v18
	v_cvt_f32_f16_e32 v18, v18
	v_lshl_or_b32 v7, v7, 9, v9
	v_cmp_eq_u32_e32 vcc, s10, v16
	v_cndmask_b32_e32 v7, v13, v7, vcc
	v_cvt_f64_f32_e32 v[18:19], v18
	v_lshrrev_b32_e32 v13, 16, v17
	v_and_or_b32 v7, v13, s11, v7
	v_and_b32_e32 v5, 0xffff, v5
	v_mul_f64 v[16:17], v[18:19], s[8:9]
	v_lshl_or_b32 v5, v7, 16, v5
	v_mov_b32_e32 v7, s2
	v_add_co_u32_e32 v13, vcc, s3, v14
	v_addc_co_u32_e32 v14, vcc, v15, v7, vcc
	global_store_dword v[13:14], v5, off
	v_and_or_b32 v5, v17, s6, v16
	v_cmp_ne_u32_e32 vcc, 0, v5
	v_cndmask_b32_e64 v5, 0, 1, vcc
	v_lshrrev_b32_e32 v7, 8, v17
	v_bfe_u32 v15, v17, 20, 11
	v_and_or_b32 v5, v7, s7, v5
	v_sub_u32_e32 v16, 0x3f1, v15
	v_or_b32_e32 v7, 0x1000, v5
	v_med3_i32 v16, v16, 0, 13
	v_lshrrev_b32_e32 v18, v16, v7
	v_lshlrev_b32_e32 v16, v16, v18
	v_cmp_ne_u32_e32 vcc, v16, v7
	v_mul_f16_sdwa v3, v77, v3 dst_sel:DWORD dst_unused:UNUSED_PAD src0_sel:WORD_1 src1_sel:DWORD
	v_cndmask_b32_e64 v7, 0, 1, vcc
	v_fma_f16 v3, v77, v20, -v3
	v_or_b32_e32 v7, v18, v7
	v_add_u32_e32 v18, 0xfffffc10, v15
	v_cvt_f32_f16_e32 v3, v3
	v_lshl_or_b32 v15, v18, 12, v5
	v_cmp_gt_i32_e32 vcc, 1, v18
	v_cndmask_b32_e32 v7, v15, v7, vcc
	v_and_b32_e32 v15, 7, v7
	v_cmp_lt_i32_e32 vcc, 5, v15
	v_cmp_eq_u32_e64 s[0:1], 3, v15
	v_cvt_f64_f32_e32 v[15:16], v3
	v_lshrrev_b32_e32 v7, 2, v7
	s_or_b64 vcc, s[0:1], vcc
	v_addc_co_u32_e32 v3, vcc, 0, v7, vcc
	v_mul_f64 v[15:16], v[15:16], s[8:9]
	v_cmp_gt_i32_e32 vcc, 31, v18
	v_cndmask_b32_e32 v3, v9, v3, vcc
	v_cmp_ne_u32_e32 vcc, 0, v5
	v_cndmask_b32_e64 v5, 0, 1, vcc
	v_lshl_or_b32 v5, v5, 9, v9
	v_cmp_eq_u32_e32 vcc, s10, v18
	v_cndmask_b32_e32 v3, v3, v5, vcc
	v_lshrrev_b32_e32 v5, 16, v17
	v_and_or_b32 v3, v5, s11, v3
	v_and_or_b32 v5, v16, s6, v15
	v_cmp_ne_u32_e32 vcc, 0, v5
	v_cndmask_b32_e64 v5, 0, 1, vcc
	v_lshrrev_b32_e32 v7, 8, v16
	v_bfe_u32 v15, v16, 20, 11
	v_and_or_b32 v5, v7, s7, v5
	v_sub_u32_e32 v17, 0x3f1, v15
	v_or_b32_e32 v7, 0x1000, v5
	v_med3_i32 v17, v17, 0, 13
	v_lshrrev_b32_e32 v18, v17, v7
	v_lshlrev_b32_e32 v17, v17, v18
	v_cmp_ne_u32_e32 vcc, v17, v7
	v_cndmask_b32_e64 v7, 0, 1, vcc
	v_add_u32_e32 v15, 0xfffffc10, v15
	v_or_b32_e32 v7, v18, v7
	v_lshl_or_b32 v17, v15, 12, v5
	v_cmp_gt_i32_e32 vcc, 1, v15
	v_cndmask_b32_e32 v7, v17, v7, vcc
	v_and_b32_e32 v17, 7, v7
	v_lshrrev_b32_e32 v19, 16, v4
	v_cmp_lt_i32_e32 vcc, 5, v17
	v_cmp_eq_u32_e64 s[0:1], 3, v17
	v_mul_f16_sdwa v17, v76, v19 dst_sel:DWORD dst_unused:UNUSED_PAD src0_sel:WORD_1 src1_sel:DWORD
	v_fma_f16 v17, v76, v4, v17
	v_cvt_f32_f16_e32 v17, v17
	v_lshrrev_b32_e32 v7, 2, v7
	s_or_b64 vcc, s[0:1], vcc
	v_addc_co_u32_e32 v7, vcc, 0, v7, vcc
	v_cmp_gt_i32_e32 vcc, 31, v15
	v_cvt_f64_f32_e32 v[17:18], v17
	v_cndmask_b32_e32 v7, v9, v7, vcc
	v_cmp_ne_u32_e32 vcc, 0, v5
	v_cndmask_b32_e64 v5, 0, 1, vcc
	v_lshl_or_b32 v5, v5, 9, v9
	v_cmp_eq_u32_e32 vcc, s10, v15
	v_cndmask_b32_e32 v5, v7, v5, vcc
	v_lshrrev_b32_e32 v7, 16, v16
	v_mul_f64 v[15:16], v[17:18], s[8:9]
	v_and_or_b32 v5, v7, s11, v5
	v_and_b32_e32 v3, 0xffff, v3
	v_lshl_or_b32 v3, v5, 16, v3
	v_mov_b32_e32 v5, s2
	v_add_co_u32_e32 v13, vcc, s3, v13
	v_addc_co_u32_e32 v14, vcc, v14, v5, vcc
	global_store_dword v[13:14], v3, off
	v_and_or_b32 v3, v16, s6, v15
	v_cmp_ne_u32_e32 vcc, 0, v3
	v_cndmask_b32_e64 v3, 0, 1, vcc
	v_lshrrev_b32_e32 v5, 8, v16
	v_and_or_b32 v7, v5, s7, v3
	v_bfe_u32 v5, v16, 20, 11
	v_sub_u32_e32 v15, 0x3f1, v5
	v_or_b32_e32 v3, 0x1000, v7
	v_med3_i32 v15, v15, 0, 13
	v_lshrrev_b32_e32 v17, v15, v3
	v_lshlrev_b32_e32 v15, v15, v17
	v_mul_f16_sdwa v4, v76, v4 dst_sel:DWORD dst_unused:UNUSED_PAD src0_sel:WORD_1 src1_sel:DWORD
	v_cmp_ne_u32_e32 vcc, v15, v3
	v_fma_f16 v4, v76, v19, -v4
	v_cndmask_b32_e64 v3, 0, 1, vcc
	v_add_u32_e32 v15, 0xfffffc10, v5
	v_cvt_f32_f16_e32 v4, v4
	v_or_b32_e32 v3, v17, v3
	v_lshl_or_b32 v5, v15, 12, v7
	v_cmp_gt_i32_e32 vcc, 1, v15
	v_cndmask_b32_e32 v3, v5, v3, vcc
	v_and_b32_e32 v5, 7, v3
	v_cmp_lt_i32_e32 vcc, 5, v5
	v_cmp_eq_u32_e64 s[0:1], 3, v5
	v_lshrrev_b32_e32 v5, 2, v3
	v_cvt_f64_f32_e32 v[3:4], v4
	s_or_b64 vcc, s[0:1], vcc
	v_addc_co_u32_e32 v5, vcc, 0, v5, vcc
	v_cmp_gt_i32_e32 vcc, 31, v15
	v_cndmask_b32_e32 v17, v9, v5, vcc
	v_mul_f64 v[4:5], v[3:4], s[8:9]
	v_cmp_ne_u32_e32 vcc, 0, v7
	v_cndmask_b32_e64 v3, 0, 1, vcc
	v_lshl_or_b32 v3, v3, 9, v9
	v_cmp_eq_u32_e32 vcc, s10, v15
	v_cndmask_b32_e32 v3, v17, v3, vcc
	v_lshrrev_b32_e32 v7, 16, v16
	v_and_or_b32 v7, v7, s11, v3
	v_and_or_b32 v3, v5, s6, v4
	v_cmp_ne_u32_e32 vcc, 0, v3
	v_cndmask_b32_e64 v3, 0, 1, vcc
	v_lshrrev_b32_e32 v4, 8, v5
	v_and_or_b32 v15, v4, s7, v3
	v_bfe_u32 v4, v5, 20, 11
	v_sub_u32_e32 v16, 0x3f1, v4
	v_or_b32_e32 v3, 0x1000, v15
	v_med3_i32 v16, v16, 0, 13
	v_lshrrev_b32_e32 v17, v16, v3
	v_lshlrev_b32_e32 v16, v16, v17
	v_cmp_ne_u32_e32 vcc, v16, v3
	v_cndmask_b32_e64 v3, 0, 1, vcc
	v_add_u32_e32 v16, 0xfffffc10, v4
	v_or_b32_e32 v3, v17, v3
	v_lshl_or_b32 v4, v16, 12, v15
	v_cmp_gt_i32_e32 vcc, 1, v16
	v_cndmask_b32_e32 v3, v4, v3, vcc
	v_and_b32_e32 v4, 7, v3
	v_cmp_lt_i32_e32 vcc, 5, v4
	v_cmp_eq_u32_e64 s[0:1], 3, v4
	v_lshrrev_b32_e32 v3, 2, v3
	s_or_b64 vcc, s[0:1], vcc
	v_addc_co_u32_e32 v17, vcc, 0, v3, vcc
	ds_read2_b32 v[3:4], v12 offset0:8 offset1:74
	v_cmp_gt_i32_e32 vcc, 31, v16
	v_cndmask_b32_e32 v12, v9, v17, vcc
	v_cmp_ne_u32_e32 vcc, 0, v15
	v_cndmask_b32_e64 v15, 0, 1, vcc
	s_waitcnt lgkmcnt(0)
	v_lshrrev_b32_e32 v17, 16, v3
	v_mul_f16_sdwa v18, v75, v17 dst_sel:DWORD dst_unused:UNUSED_PAD src0_sel:WORD_1 src1_sel:DWORD
	v_fma_f16 v18, v75, v3, v18
	v_cvt_f32_f16_e32 v18, v18
	v_lshl_or_b32 v15, v15, 9, v9
	v_cmp_eq_u32_e32 vcc, s10, v16
	v_cndmask_b32_e32 v12, v12, v15, vcc
	v_cvt_f64_f32_e32 v[15:16], v18
	v_lshrrev_b32_e32 v5, 16, v5
	v_and_or_b32 v5, v5, s11, v12
	v_mov_b32_e32 v12, 0xfffff190
	v_mul_f64 v[15:16], v[15:16], s[8:9]
	v_mad_u64_u32 v[13:14], s[0:1], s4, v12, v[13:14]
	s_mul_i32 s0, s5, 0xfffff190
	v_and_b32_e32 v7, 0xffff, v7
	s_sub_i32 s5, s0, s4
	v_lshl_or_b32 v5, v5, 16, v7
	v_add_u32_e32 v14, s5, v14
	global_store_dword v[13:14], v5, off
	v_and_or_b32 v5, v16, s6, v15
	v_cmp_ne_u32_e32 vcc, 0, v5
	v_cndmask_b32_e64 v5, 0, 1, vcc
	v_lshrrev_b32_e32 v7, 8, v16
	v_bfe_u32 v15, v16, 20, 11
	v_and_or_b32 v5, v7, s7, v5
	v_sub_u32_e32 v18, 0x3f1, v15
	v_or_b32_e32 v7, 0x1000, v5
	v_med3_i32 v18, v18, 0, 13
	v_lshrrev_b32_e32 v19, v18, v7
	v_lshlrev_b32_e32 v18, v18, v19
	v_mul_f16_sdwa v3, v75, v3 dst_sel:DWORD dst_unused:UNUSED_PAD src0_sel:WORD_1 src1_sel:DWORD
	v_cmp_ne_u32_e32 vcc, v18, v7
	v_fma_f16 v3, v75, v17, -v3
	v_cndmask_b32_e64 v7, 0, 1, vcc
	v_add_u32_e32 v15, 0xfffffc10, v15
	v_cvt_f32_f16_e32 v3, v3
	v_or_b32_e32 v7, v19, v7
	v_lshl_or_b32 v18, v15, 12, v5
	v_cmp_gt_i32_e32 vcc, 1, v15
	v_cndmask_b32_e32 v7, v18, v7, vcc
	v_and_b32_e32 v18, 7, v7
	v_cmp_lt_i32_e32 vcc, 5, v18
	v_cmp_eq_u32_e64 s[0:1], 3, v18
	v_cvt_f64_f32_e32 v[17:18], v3
	v_lshrrev_b32_e32 v7, 2, v7
	s_or_b64 vcc, s[0:1], vcc
	v_addc_co_u32_e32 v3, vcc, 0, v7, vcc
	v_mul_f64 v[17:18], v[17:18], s[8:9]
	v_cmp_gt_i32_e32 vcc, 31, v15
	v_cndmask_b32_e32 v3, v9, v3, vcc
	v_cmp_ne_u32_e32 vcc, 0, v5
	v_cndmask_b32_e64 v5, 0, 1, vcc
	v_lshl_or_b32 v5, v5, 9, v9
	v_cmp_eq_u32_e32 vcc, s10, v15
	v_cndmask_b32_e32 v3, v3, v5, vcc
	v_lshrrev_b32_e32 v5, 16, v16
	v_and_or_b32 v3, v5, s11, v3
	v_and_or_b32 v5, v18, s6, v17
	v_cmp_ne_u32_e32 vcc, 0, v5
	v_cndmask_b32_e64 v5, 0, 1, vcc
	v_lshrrev_b32_e32 v7, 8, v18
	v_bfe_u32 v15, v18, 20, 11
	v_and_or_b32 v5, v7, s7, v5
	v_sub_u32_e32 v16, 0x3f1, v15
	v_or_b32_e32 v7, 0x1000, v5
	v_med3_i32 v16, v16, 0, 13
	v_lshrrev_b32_e32 v17, v16, v7
	v_lshlrev_b32_e32 v16, v16, v17
	v_cmp_ne_u32_e32 vcc, v16, v7
	v_cndmask_b32_e64 v7, 0, 1, vcc
	v_add_u32_e32 v15, 0xfffffc10, v15
	v_or_b32_e32 v7, v17, v7
	v_lshl_or_b32 v16, v15, 12, v5
	v_cmp_gt_i32_e32 vcc, 1, v15
	v_cndmask_b32_e32 v7, v16, v7, vcc
	v_and_b32_e32 v16, 7, v7
	v_lshrrev_b32_e32 v17, 16, v6
	v_cmp_lt_i32_e32 vcc, 5, v16
	v_cmp_eq_u32_e64 s[0:1], 3, v16
	v_mul_f16_sdwa v16, v74, v17 dst_sel:DWORD dst_unused:UNUSED_PAD src0_sel:WORD_1 src1_sel:DWORD
	v_fma_f16 v16, v74, v6, v16
	v_lshrrev_b32_e32 v7, 2, v7
	s_or_b64 vcc, s[0:1], vcc
	v_cvt_f32_f16_e32 v16, v16
	v_addc_co_u32_e32 v7, vcc, 0, v7, vcc
	v_cmp_gt_i32_e32 vcc, 31, v15
	v_cndmask_b32_e32 v7, v9, v7, vcc
	v_cmp_ne_u32_e32 vcc, 0, v5
	v_cndmask_b32_e64 v5, 0, 1, vcc
	v_cmp_eq_u32_e32 vcc, s10, v15
	v_cvt_f64_f32_e32 v[15:16], v16
	v_lshl_or_b32 v5, v5, 9, v9
	v_cndmask_b32_e32 v5, v7, v5, vcc
	v_lshrrev_b32_e32 v7, 16, v18
	v_mul_f64 v[15:16], v[15:16], s[8:9]
	v_and_or_b32 v5, v7, s11, v5
	v_and_b32_e32 v3, 0xffff, v3
	v_lshl_or_b32 v3, v5, 16, v3
	v_mov_b32_e32 v5, s2
	v_add_co_u32_e32 v13, vcc, s3, v13
	v_addc_co_u32_e32 v14, vcc, v14, v5, vcc
	global_store_dword v[13:14], v3, off
	v_and_or_b32 v3, v16, s6, v15
	v_cmp_ne_u32_e32 vcc, 0, v3
	v_cndmask_b32_e64 v3, 0, 1, vcc
	v_lshrrev_b32_e32 v5, 8, v16
	v_bfe_u32 v7, v16, 20, 11
	v_and_or_b32 v3, v5, s7, v3
	v_sub_u32_e32 v15, 0x3f1, v7
	v_or_b32_e32 v5, 0x1000, v3
	v_med3_i32 v15, v15, 0, 13
	v_lshrrev_b32_e32 v18, v15, v5
	v_lshlrev_b32_e32 v15, v15, v18
	v_mul_f16_sdwa v6, v74, v6 dst_sel:DWORD dst_unused:UNUSED_PAD src0_sel:WORD_1 src1_sel:DWORD
	v_cmp_ne_u32_e32 vcc, v15, v5
	v_fma_f16 v6, v74, v17, -v6
	v_cndmask_b32_e64 v5, 0, 1, vcc
	v_add_u32_e32 v15, 0xfffffc10, v7
	v_cvt_f32_f16_e32 v6, v6
	v_or_b32_e32 v5, v18, v5
	v_lshl_or_b32 v7, v15, 12, v3
	v_cmp_gt_i32_e32 vcc, 1, v15
	v_cndmask_b32_e32 v5, v7, v5, vcc
	v_and_b32_e32 v7, 7, v5
	v_cmp_lt_i32_e32 vcc, 5, v7
	v_cmp_eq_u32_e64 s[0:1], 3, v7
	v_lshrrev_b32_e32 v7, 2, v5
	v_cvt_f64_f32_e32 v[5:6], v6
	s_or_b64 vcc, s[0:1], vcc
	v_addc_co_u32_e32 v7, vcc, 0, v7, vcc
	v_cmp_gt_i32_e32 vcc, 31, v15
	v_cndmask_b32_e32 v17, v9, v7, vcc
	v_mul_f64 v[6:7], v[5:6], s[8:9]
	v_cmp_ne_u32_e32 vcc, 0, v3
	v_cndmask_b32_e64 v3, 0, 1, vcc
	v_lshl_or_b32 v3, v3, 9, v9
	v_cmp_eq_u32_e32 vcc, s10, v15
	v_cndmask_b32_e32 v3, v17, v3, vcc
	v_lshrrev_b32_e32 v5, 16, v16
	v_and_or_b32 v3, v5, s11, v3
	v_and_or_b32 v5, v7, s6, v6
	v_cmp_ne_u32_e32 vcc, 0, v5
	v_cndmask_b32_e64 v5, 0, 1, vcc
	v_lshrrev_b32_e32 v6, 8, v7
	v_and_or_b32 v15, v6, s7, v5
	v_bfe_u32 v6, v7, 20, 11
	v_sub_u32_e32 v16, 0x3f1, v6
	v_or_b32_e32 v5, 0x1000, v15
	v_med3_i32 v16, v16, 0, 13
	v_lshrrev_b32_e32 v17, v16, v5
	v_lshlrev_b32_e32 v16, v16, v17
	v_cmp_ne_u32_e32 vcc, v16, v5
	v_cndmask_b32_e64 v5, 0, 1, vcc
	v_add_u32_e32 v16, 0xfffffc10, v6
	v_or_b32_e32 v5, v17, v5
	v_lshl_or_b32 v6, v16, 12, v15
	v_cmp_gt_i32_e32 vcc, 1, v16
	v_cndmask_b32_e32 v5, v6, v5, vcc
	v_and_b32_e32 v6, 7, v5
	v_cmp_lt_i32_e32 vcc, 5, v6
	v_cmp_eq_u32_e64 s[0:1], 3, v6
	v_lshrrev_b32_e32 v5, 2, v5
	s_or_b64 vcc, s[0:1], vcc
	v_addc_co_u32_e32 v17, vcc, 0, v5, vcc
	ds_read2_b32 v[5:6], v11 offset0:148 offset1:214
	v_cmp_gt_i32_e32 vcc, 31, v16
	v_cndmask_b32_e32 v11, v9, v17, vcc
	v_cmp_ne_u32_e32 vcc, 0, v15
	v_cndmask_b32_e64 v15, 0, 1, vcc
	s_waitcnt lgkmcnt(0)
	v_lshrrev_b32_e32 v17, 16, v5
	v_mul_f16_sdwa v18, v73, v17 dst_sel:DWORD dst_unused:UNUSED_PAD src0_sel:WORD_1 src1_sel:DWORD
	v_fma_f16 v18, v73, v5, v18
	v_cvt_f32_f16_e32 v18, v18
	v_lshl_or_b32 v15, v15, 9, v9
	v_cmp_eq_u32_e32 vcc, s10, v16
	v_cndmask_b32_e32 v11, v11, v15, vcc
	v_cvt_f64_f32_e32 v[15:16], v18
	v_lshrrev_b32_e32 v7, 16, v7
	v_and_or_b32 v7, v7, s11, v11
	v_and_b32_e32 v3, 0xffff, v3
	v_mul_f64 v[15:16], v[15:16], s[8:9]
	v_lshl_or_b32 v3, v7, 16, v3
	v_mov_b32_e32 v7, s2
	v_add_co_u32_e32 v13, vcc, s3, v13
	v_addc_co_u32_e32 v14, vcc, v14, v7, vcc
	global_store_dword v[13:14], v3, off
	v_and_or_b32 v3, v16, s6, v15
	v_cmp_ne_u32_e32 vcc, 0, v3
	v_cndmask_b32_e64 v3, 0, 1, vcc
	v_lshrrev_b32_e32 v7, 8, v16
	v_bfe_u32 v11, v16, 20, 11
	v_and_or_b32 v3, v7, s7, v3
	v_sub_u32_e32 v15, 0x3f1, v11
	v_mul_f16_sdwa v5, v73, v5 dst_sel:DWORD dst_unused:UNUSED_PAD src0_sel:WORD_1 src1_sel:DWORD
	v_or_b32_e32 v7, 0x1000, v3
	v_med3_i32 v15, v15, 0, 13
	v_fma_f16 v5, v73, v17, -v5
	v_lshrrev_b32_e32 v18, v15, v7
	v_cvt_f32_f16_e32 v5, v5
	v_lshlrev_b32_e32 v15, v15, v18
	v_cmp_ne_u32_e32 vcc, v15, v7
	v_cndmask_b32_e64 v7, 0, 1, vcc
	v_or_b32_e32 v7, v18, v7
	v_add_u32_e32 v11, 0xfffffc10, v11
	v_cvt_f64_f32_e32 v[17:18], v5
	v_lshl_or_b32 v15, v11, 12, v3
	v_cmp_gt_i32_e32 vcc, 1, v11
	v_cndmask_b32_e32 v7, v15, v7, vcc
	v_and_b32_e32 v15, 7, v7
	v_cmp_lt_i32_e32 vcc, 5, v15
	v_cmp_eq_u32_e64 s[0:1], 3, v15
	v_mul_f64 v[17:18], v[17:18], s[8:9]
	v_lshrrev_b32_e32 v7, 2, v7
	s_or_b64 vcc, s[0:1], vcc
	v_addc_co_u32_e32 v5, vcc, 0, v7, vcc
	v_cmp_gt_i32_e32 vcc, 31, v11
	v_cndmask_b32_e32 v5, v9, v5, vcc
	v_cmp_ne_u32_e32 vcc, 0, v3
	v_cndmask_b32_e64 v3, 0, 1, vcc
	v_lshl_or_b32 v3, v3, 9, v9
	v_cmp_eq_u32_e32 vcc, s10, v11
	v_cndmask_b32_e32 v3, v5, v3, vcc
	v_lshrrev_b32_e32 v5, 16, v16
	v_and_or_b32 v3, v5, s11, v3
	v_and_or_b32 v5, v18, s6, v17
	v_cmp_ne_u32_e32 vcc, 0, v5
	v_cndmask_b32_e64 v5, 0, 1, vcc
	v_lshrrev_b32_e32 v7, 8, v18
	v_bfe_u32 v11, v18, 20, 11
	v_and_or_b32 v5, v7, s7, v5
	v_sub_u32_e32 v15, 0x3f1, v11
	v_or_b32_e32 v7, 0x1000, v5
	v_med3_i32 v15, v15, 0, 13
	v_lshrrev_b32_e32 v16, v15, v7
	v_lshlrev_b32_e32 v15, v15, v16
	v_cmp_ne_u32_e32 vcc, v15, v7
	v_cndmask_b32_e64 v7, 0, 1, vcc
	v_add_u32_e32 v11, 0xfffffc10, v11
	v_or_b32_e32 v7, v16, v7
	v_lshl_or_b32 v15, v11, 12, v5
	v_cmp_gt_i32_e32 vcc, 1, v11
	v_cndmask_b32_e32 v7, v15, v7, vcc
	v_and_b32_e32 v15, 7, v7
	v_lshrrev_b32_e32 v17, 16, v8
	v_cmp_lt_i32_e32 vcc, 5, v15
	v_cmp_eq_u32_e64 s[0:1], 3, v15
	v_mul_f16_sdwa v15, v72, v17 dst_sel:DWORD dst_unused:UNUSED_PAD src0_sel:WORD_1 src1_sel:DWORD
	v_fma_f16 v15, v72, v8, v15
	v_cvt_f32_f16_e32 v15, v15
	v_lshrrev_b32_e32 v7, 2, v7
	s_or_b64 vcc, s[0:1], vcc
	v_addc_co_u32_e32 v7, vcc, 0, v7, vcc
	v_cvt_f64_f32_e32 v[15:16], v15
	v_cmp_gt_i32_e32 vcc, 31, v11
	v_cndmask_b32_e32 v7, v9, v7, vcc
	v_cmp_ne_u32_e32 vcc, 0, v5
	v_mul_f64 v[15:16], v[15:16], s[8:9]
	v_cndmask_b32_e64 v5, 0, 1, vcc
	v_lshl_or_b32 v5, v5, 9, v9
	v_cmp_eq_u32_e32 vcc, s10, v11
	v_cndmask_b32_e32 v5, v7, v5, vcc
	v_lshrrev_b32_e32 v7, 16, v18
	v_and_or_b32 v5, v7, s11, v5
	v_and_b32_e32 v3, 0xffff, v3
	v_lshl_or_b32 v3, v5, 16, v3
	v_mov_b32_e32 v5, s2
	v_add_co_u32_e32 v13, vcc, s3, v13
	v_addc_co_u32_e32 v14, vcc, v14, v5, vcc
	global_store_dword v[13:14], v3, off
	v_and_or_b32 v3, v16, s6, v15
	v_cmp_ne_u32_e32 vcc, 0, v3
	v_cndmask_b32_e64 v3, 0, 1, vcc
	v_lshrrev_b32_e32 v5, 8, v16
	v_bfe_u32 v7, v16, 20, 11
	v_and_or_b32 v3, v5, s7, v3
	v_sub_u32_e32 v11, 0x3f1, v7
	v_or_b32_e32 v5, 0x1000, v3
	v_med3_i32 v11, v11, 0, 13
	v_lshrrev_b32_e32 v15, v11, v5
	v_lshlrev_b32_e32 v11, v11, v15
	v_mul_f16_sdwa v8, v72, v8 dst_sel:DWORD dst_unused:UNUSED_PAD src0_sel:WORD_1 src1_sel:DWORD
	v_cmp_ne_u32_e32 vcc, v11, v5
	v_fma_f16 v8, v72, v17, -v8
	v_cndmask_b32_e64 v5, 0, 1, vcc
	v_add_u32_e32 v11, 0xfffffc10, v7
	v_cvt_f32_f16_e32 v8, v8
	v_or_b32_e32 v5, v15, v5
	v_lshl_or_b32 v7, v11, 12, v3
	v_cmp_gt_i32_e32 vcc, 1, v11
	v_cndmask_b32_e32 v5, v7, v5, vcc
	v_and_b32_e32 v7, 7, v5
	v_cmp_lt_i32_e32 vcc, 5, v7
	v_cmp_eq_u32_e64 s[0:1], 3, v7
	v_cvt_f64_f32_e32 v[7:8], v8
	v_lshrrev_b32_e32 v5, 2, v5
	s_or_b64 vcc, s[0:1], vcc
	v_addc_co_u32_e32 v5, vcc, 0, v5, vcc
	v_mul_f64 v[17:18], v[7:8], s[8:9]
	v_cmp_gt_i32_e32 vcc, 31, v11
	v_cndmask_b32_e32 v5, v9, v5, vcc
	v_cmp_ne_u32_e32 vcc, 0, v3
	v_cndmask_b32_e64 v3, 0, 1, vcc
	v_lshl_or_b32 v3, v3, 9, v9
	v_cmp_eq_u32_e32 vcc, s10, v11
	v_cndmask_b32_e32 v3, v5, v3, vcc
	v_lshrrev_b32_e32 v5, 16, v16
	v_and_or_b32 v3, v5, s11, v3
	v_and_or_b32 v5, v18, s6, v17
	v_cmp_ne_u32_e32 vcc, 0, v5
	v_cndmask_b32_e64 v5, 0, 1, vcc
	v_lshrrev_b32_e32 v7, 8, v18
	v_bfe_u32 v8, v18, 20, 11
	v_and_or_b32 v5, v7, s7, v5
	v_sub_u32_e32 v11, 0x3f1, v8
	v_or_b32_e32 v7, 0x1000, v5
	v_med3_i32 v11, v11, 0, 13
	v_lshrrev_b32_e32 v15, v11, v7
	v_lshlrev_b32_e32 v11, v11, v15
	v_cmp_ne_u32_e32 vcc, v11, v7
	v_cndmask_b32_e64 v7, 0, 1, vcc
	v_add_u32_e32 v11, 0xfffffc10, v8
	v_or_b32_e32 v7, v15, v7
	v_lshl_or_b32 v8, v11, 12, v5
	v_cmp_gt_i32_e32 vcc, 1, v11
	v_cndmask_b32_e32 v7, v8, v7, vcc
	v_and_b32_e32 v8, 7, v7
	v_cmp_lt_i32_e32 vcc, 5, v8
	v_cmp_eq_u32_e64 s[0:1], 3, v8
	v_lshrrev_b32_e32 v7, 2, v7
	s_or_b64 vcc, s[0:1], vcc
	v_addc_co_u32_e32 v15, vcc, 0, v7, vcc
	ds_read2_b32 v[7:8], v10 offset0:32 offset1:98
	v_cmp_gt_i32_e32 vcc, 31, v11
	v_cndmask_b32_e32 v10, v9, v15, vcc
	v_cmp_ne_u32_e32 vcc, 0, v5
	v_cndmask_b32_e64 v5, 0, 1, vcc
	s_waitcnt lgkmcnt(0)
	v_lshrrev_b32_e32 v15, 16, v7
	v_mul_f16_sdwa v16, v71, v15 dst_sel:DWORD dst_unused:UNUSED_PAD src0_sel:WORD_1 src1_sel:DWORD
	v_fma_f16 v16, v71, v7, v16
	v_cvt_f32_f16_e32 v16, v16
	v_lshl_or_b32 v5, v5, 9, v9
	v_cmp_eq_u32_e32 vcc, s10, v11
	v_cndmask_b32_e32 v5, v10, v5, vcc
	v_cvt_f64_f32_e32 v[10:11], v16
	v_lshrrev_b32_e32 v16, 16, v18
	v_and_or_b32 v5, v16, s11, v5
	v_and_b32_e32 v3, 0xffff, v3
	v_mul_f64 v[10:11], v[10:11], s[8:9]
	v_lshl_or_b32 v3, v5, 16, v3
	v_mov_b32_e32 v5, s2
	v_add_co_u32_e32 v13, vcc, s3, v13
	v_addc_co_u32_e32 v14, vcc, v14, v5, vcc
	global_store_dword v[13:14], v3, off
	v_and_or_b32 v3, v11, s6, v10
	v_cmp_ne_u32_e32 vcc, 0, v3
	v_cndmask_b32_e64 v3, 0, 1, vcc
	v_lshrrev_b32_e32 v5, 8, v11
	v_bfe_u32 v10, v11, 20, 11
	v_and_or_b32 v3, v5, s7, v3
	v_sub_u32_e32 v16, 0x3f1, v10
	v_or_b32_e32 v5, 0x1000, v3
	v_med3_i32 v16, v16, 0, 13
	v_lshrrev_b32_e32 v17, v16, v5
	v_lshlrev_b32_e32 v16, v16, v17
	v_mul_f16_sdwa v7, v71, v7 dst_sel:DWORD dst_unused:UNUSED_PAD src0_sel:WORD_1 src1_sel:DWORD
	v_cmp_ne_u32_e32 vcc, v16, v5
	v_fma_f16 v7, v71, v15, -v7
	v_cndmask_b32_e64 v5, 0, 1, vcc
	v_add_u32_e32 v10, 0xfffffc10, v10
	v_cvt_f32_f16_e32 v7, v7
	v_or_b32_e32 v5, v17, v5
	v_lshl_or_b32 v16, v10, 12, v3
	v_cmp_gt_i32_e32 vcc, 1, v10
	v_cndmask_b32_e32 v5, v16, v5, vcc
	v_and_b32_e32 v16, 7, v5
	v_cmp_lt_i32_e32 vcc, 5, v16
	v_cmp_eq_u32_e64 s[0:1], 3, v16
	v_cvt_f64_f32_e32 v[15:16], v7
	v_lshrrev_b32_e32 v5, 2, v5
	s_or_b64 vcc, s[0:1], vcc
	v_addc_co_u32_e32 v5, vcc, 0, v5, vcc
	v_mul_f64 v[15:16], v[15:16], s[8:9]
	v_cmp_gt_i32_e32 vcc, 31, v10
	v_cndmask_b32_e32 v5, v9, v5, vcc
	v_cmp_ne_u32_e32 vcc, 0, v3
	v_cndmask_b32_e64 v3, 0, 1, vcc
	v_lshl_or_b32 v3, v3, 9, v9
	v_cmp_eq_u32_e32 vcc, s10, v10
	v_cndmask_b32_e32 v3, v5, v3, vcc
	v_lshrrev_b32_e32 v5, 16, v11
	v_and_or_b32 v3, v5, s11, v3
	v_and_or_b32 v5, v16, s6, v15
	v_cmp_ne_u32_e32 vcc, 0, v5
	v_cndmask_b32_e64 v5, 0, 1, vcc
	v_lshrrev_b32_e32 v7, 8, v16
	v_bfe_u32 v10, v16, 20, 11
	v_and_or_b32 v5, v7, s7, v5
	v_sub_u32_e32 v11, 0x3f1, v10
	v_or_b32_e32 v7, 0x1000, v5
	v_med3_i32 v11, v11, 0, 13
	v_lshrrev_b32_e32 v15, v11, v7
	v_lshlrev_b32_e32 v11, v11, v15
	v_cmp_ne_u32_e32 vcc, v11, v7
	v_cndmask_b32_e64 v7, 0, 1, vcc
	v_add_u32_e32 v10, 0xfffffc10, v10
	v_or_b32_e32 v7, v15, v7
	v_lshl_or_b32 v11, v10, 12, v5
	v_cmp_gt_i32_e32 vcc, 1, v10
	v_cndmask_b32_e32 v7, v11, v7, vcc
	v_and_b32_e32 v11, 7, v7
	v_lshrrev_b32_e32 v15, 16, v0
	v_cmp_lt_i32_e32 vcc, 5, v11
	v_cmp_eq_u32_e64 s[0:1], 3, v11
	v_mul_f16_sdwa v11, v70, v15 dst_sel:DWORD dst_unused:UNUSED_PAD src0_sel:WORD_1 src1_sel:DWORD
	v_fma_f16 v11, v70, v0, v11
	v_lshrrev_b32_e32 v7, 2, v7
	s_or_b64 vcc, s[0:1], vcc
	v_cvt_f32_f16_e32 v11, v11
	v_addc_co_u32_e32 v7, vcc, 0, v7, vcc
	v_cmp_gt_i32_e32 vcc, 31, v10
	v_cndmask_b32_e32 v7, v9, v7, vcc
	v_cmp_ne_u32_e32 vcc, 0, v5
	v_cndmask_b32_e64 v5, 0, 1, vcc
	v_cmp_eq_u32_e32 vcc, s10, v10
	v_cvt_f64_f32_e32 v[10:11], v11
	v_lshl_or_b32 v5, v5, 9, v9
	v_cndmask_b32_e32 v5, v7, v5, vcc
	v_lshrrev_b32_e32 v7, 16, v16
	v_mul_f64 v[10:11], v[10:11], s[8:9]
	v_and_or_b32 v5, v7, s11, v5
	v_and_b32_e32 v3, 0xffff, v3
	v_lshl_or_b32 v3, v5, 16, v3
	v_mov_b32_e32 v5, s2
	v_add_co_u32_e32 v13, vcc, s3, v13
	v_addc_co_u32_e32 v14, vcc, v14, v5, vcc
	global_store_dword v[13:14], v3, off
	v_and_or_b32 v3, v11, s6, v10
	v_cmp_ne_u32_e32 vcc, 0, v3
	v_cndmask_b32_e64 v3, 0, 1, vcc
	v_lshrrev_b32_e32 v5, 8, v11
	v_bfe_u32 v7, v11, 20, 11
	v_and_or_b32 v3, v5, s7, v3
	v_sub_u32_e32 v10, 0x3f1, v7
	v_mul_f16_sdwa v0, v70, v0 dst_sel:DWORD dst_unused:UNUSED_PAD src0_sel:WORD_1 src1_sel:DWORD
	v_or_b32_e32 v5, 0x1000, v3
	v_med3_i32 v10, v10, 0, 13
	v_fma_f16 v0, v70, v15, -v0
	v_lshrrev_b32_e32 v16, v10, v5
	v_cvt_f32_f16_e32 v0, v0
	v_lshlrev_b32_e32 v10, v10, v16
	v_cmp_ne_u32_e32 vcc, v10, v5
	v_cndmask_b32_e64 v5, 0, 1, vcc
	v_or_b32_e32 v5, v16, v5
	v_add_u32_e32 v7, 0xfffffc10, v7
	v_cvt_f64_f32_e32 v[15:16], v0
	v_lshl_or_b32 v10, v7, 12, v3
	v_cmp_gt_i32_e32 vcc, 1, v7
	v_cndmask_b32_e32 v5, v10, v5, vcc
	v_and_b32_e32 v10, 7, v5
	v_cmp_lt_i32_e32 vcc, 5, v10
	v_cmp_eq_u32_e64 s[0:1], 3, v10
	v_mul_f64 v[15:16], v[15:16], s[8:9]
	v_lshrrev_b32_e32 v5, 2, v5
	s_or_b64 vcc, s[0:1], vcc
	v_addc_co_u32_e32 v0, vcc, 0, v5, vcc
	v_cmp_gt_i32_e32 vcc, 31, v7
	v_cndmask_b32_e32 v0, v9, v0, vcc
	v_cmp_ne_u32_e32 vcc, 0, v3
	v_cndmask_b32_e64 v3, 0, 1, vcc
	v_lshl_or_b32 v3, v3, 9, v9
	v_cmp_eq_u32_e32 vcc, s10, v7
	v_cndmask_b32_e32 v0, v0, v3, vcc
	v_lshrrev_b32_e32 v3, 16, v11
	v_and_or_b32 v0, v3, s11, v0
	v_and_or_b32 v3, v16, s6, v15
	v_cmp_ne_u32_e32 vcc, 0, v3
	v_cndmask_b32_e64 v3, 0, 1, vcc
	v_lshrrev_b32_e32 v5, 8, v16
	v_bfe_u32 v7, v16, 20, 11
	v_and_or_b32 v3, v5, s7, v3
	v_sub_u32_e32 v10, 0x3f1, v7
	v_or_b32_e32 v5, 0x1000, v3
	v_med3_i32 v10, v10, 0, 13
	v_lshrrev_b32_e32 v11, v10, v5
	v_lshlrev_b32_e32 v10, v10, v11
	v_cmp_ne_u32_e32 vcc, v10, v5
	v_cndmask_b32_e64 v5, 0, 1, vcc
	v_add_u32_e32 v7, 0xfffffc10, v7
	v_or_b32_e32 v5, v11, v5
	v_lshl_or_b32 v10, v7, 12, v3
	v_cmp_gt_i32_e32 vcc, 1, v7
	v_cndmask_b32_e32 v5, v10, v5, vcc
	v_and_b32_e32 v10, 7, v5
	v_lshrrev_b32_e32 v15, 16, v4
	v_cmp_lt_i32_e32 vcc, 5, v10
	v_cmp_eq_u32_e64 s[0:1], 3, v10
	v_mul_f16_sdwa v10, v69, v15 dst_sel:DWORD dst_unused:UNUSED_PAD src0_sel:WORD_1 src1_sel:DWORD
	v_fma_f16 v10, v69, v4, v10
	v_cvt_f32_f16_e32 v10, v10
	v_lshrrev_b32_e32 v5, 2, v5
	s_or_b64 vcc, s[0:1], vcc
	v_addc_co_u32_e32 v5, vcc, 0, v5, vcc
	v_cvt_f64_f32_e32 v[10:11], v10
	v_cmp_gt_i32_e32 vcc, 31, v7
	v_cndmask_b32_e32 v5, v9, v5, vcc
	v_cmp_ne_u32_e32 vcc, 0, v3
	v_mul_f64 v[10:11], v[10:11], s[8:9]
	v_cndmask_b32_e64 v3, 0, 1, vcc
	v_mad_u64_u32 v[12:13], s[0:1], s4, v12, v[13:14]
	v_lshl_or_b32 v3, v3, 9, v9
	v_cmp_eq_u32_e32 vcc, s10, v7
	v_cndmask_b32_e32 v3, v5, v3, vcc
	v_lshrrev_b32_e32 v5, 16, v16
	v_and_or_b32 v3, v5, s11, v3
	v_and_b32_e32 v0, 0xffff, v0
	v_lshl_or_b32 v0, v3, 16, v0
	v_add_u32_e32 v13, s5, v13
	global_store_dword v[12:13], v0, off
	v_and_or_b32 v0, v11, s6, v10
	v_cmp_ne_u32_e32 vcc, 0, v0
	v_cndmask_b32_e64 v0, 0, 1, vcc
	v_lshrrev_b32_e32 v3, 8, v11
	v_bfe_u32 v5, v11, 20, 11
	v_and_or_b32 v0, v3, s7, v0
	v_sub_u32_e32 v7, 0x3f1, v5
	v_or_b32_e32 v3, 0x1000, v0
	v_med3_i32 v7, v7, 0, 13
	v_lshrrev_b32_e32 v10, v7, v3
	v_lshlrev_b32_e32 v7, v7, v10
	v_mul_f16_sdwa v4, v69, v4 dst_sel:DWORD dst_unused:UNUSED_PAD src0_sel:WORD_1 src1_sel:DWORD
	v_cmp_ne_u32_e32 vcc, v7, v3
	v_fma_f16 v4, v69, v15, -v4
	v_cndmask_b32_e64 v3, 0, 1, vcc
	v_add_u32_e32 v5, 0xfffffc10, v5
	v_cvt_f32_f16_e32 v4, v4
	v_or_b32_e32 v3, v10, v3
	v_lshl_or_b32 v7, v5, 12, v0
	v_cmp_gt_i32_e32 vcc, 1, v5
	v_cndmask_b32_e32 v3, v7, v3, vcc
	v_and_b32_e32 v7, 7, v3
	v_cmp_lt_i32_e32 vcc, 5, v7
	v_cmp_eq_u32_e64 s[0:1], 3, v7
	v_lshrrev_b32_e32 v7, 2, v3
	v_cvt_f64_f32_e32 v[3:4], v4
	s_or_b64 vcc, s[0:1], vcc
	v_addc_co_u32_e32 v7, vcc, 0, v7, vcc
	v_mul_f64 v[3:4], v[3:4], s[8:9]
	v_cmp_gt_i32_e32 vcc, 31, v5
	v_cndmask_b32_e32 v7, v9, v7, vcc
	v_cmp_ne_u32_e32 vcc, 0, v0
	v_cndmask_b32_e64 v0, 0, 1, vcc
	v_lshl_or_b32 v0, v0, 9, v9
	v_cmp_eq_u32_e32 vcc, s10, v5
	v_cndmask_b32_e32 v0, v7, v0, vcc
	v_and_or_b32 v3, v4, s6, v3
	v_lshrrev_b32_e32 v5, 16, v11
	v_cmp_ne_u32_e32 vcc, 0, v3
	v_and_or_b32 v0, v5, s11, v0
	v_cndmask_b32_e64 v3, 0, 1, vcc
	v_lshrrev_b32_e32 v5, 8, v4
	v_bfe_u32 v7, v4, 20, 11
	v_and_or_b32 v3, v5, s7, v3
	v_sub_u32_e32 v10, 0x3f1, v7
	v_or_b32_e32 v5, 0x1000, v3
	v_med3_i32 v10, v10, 0, 13
	v_lshrrev_b32_e32 v11, v10, v5
	v_lshlrev_b32_e32 v10, v10, v11
	v_cmp_ne_u32_e32 vcc, v10, v5
	v_cndmask_b32_e64 v5, 0, 1, vcc
	v_add_u32_e32 v7, 0xfffffc10, v7
	v_or_b32_e32 v5, v11, v5
	v_lshl_or_b32 v10, v7, 12, v3
	v_cmp_gt_i32_e32 vcc, 1, v7
	v_cndmask_b32_e32 v5, v10, v5, vcc
	v_and_b32_e32 v10, 7, v5
	v_lshrrev_b32_e32 v14, 16, v1
	v_cmp_lt_i32_e32 vcc, 5, v10
	v_cmp_eq_u32_e64 s[0:1], 3, v10
	v_mul_f16_sdwa v10, v68, v14 dst_sel:DWORD dst_unused:UNUSED_PAD src0_sel:WORD_1 src1_sel:DWORD
	v_fma_f16 v10, v68, v1, v10
	v_cvt_f32_f16_e32 v10, v10
	v_lshrrev_b32_e32 v5, 2, v5
	s_or_b64 vcc, s[0:1], vcc
	v_addc_co_u32_e32 v5, vcc, 0, v5, vcc
	v_cmp_gt_i32_e32 vcc, 31, v7
	v_cndmask_b32_e32 v5, v9, v5, vcc
	v_cmp_ne_u32_e32 vcc, 0, v3
	v_cvt_f64_f32_e32 v[10:11], v10
	v_cndmask_b32_e64 v3, 0, 1, vcc
	v_lshl_or_b32 v3, v3, 9, v9
	v_cmp_eq_u32_e32 vcc, s10, v7
	v_cndmask_b32_e32 v3, v5, v3, vcc
	v_lshrrev_b32_e32 v4, 16, v4
	v_and_or_b32 v5, v4, s11, v3
	v_mul_f64 v[3:4], v[10:11], s[8:9]
	v_and_b32_e32 v0, 0xffff, v0
	v_lshl_or_b32 v0, v5, 16, v0
	v_mov_b32_e32 v5, s2
	v_add_co_u32_e32 v10, vcc, s3, v12
	v_addc_co_u32_e32 v11, vcc, v13, v5, vcc
	global_store_dword v[10:11], v0, off
	v_and_or_b32 v0, v4, s6, v3
	v_cmp_ne_u32_e32 vcc, 0, v0
	v_cndmask_b32_e64 v0, 0, 1, vcc
	v_lshrrev_b32_e32 v3, 8, v4
	v_bfe_u32 v5, v4, 20, 11
	v_and_or_b32 v3, v3, s7, v0
	v_sub_u32_e32 v7, 0x3f1, v5
	v_or_b32_e32 v0, 0x1000, v3
	v_med3_i32 v7, v7, 0, 13
	v_lshrrev_b32_e32 v12, v7, v0
	v_lshlrev_b32_e32 v7, v7, v12
	v_mul_f16_sdwa v1, v68, v1 dst_sel:DWORD dst_unused:UNUSED_PAD src0_sel:WORD_1 src1_sel:DWORD
	v_cmp_ne_u32_e32 vcc, v7, v0
	v_fma_f16 v1, v68, v14, -v1
	v_cndmask_b32_e64 v0, 0, 1, vcc
	v_add_u32_e32 v5, 0xfffffc10, v5
	v_cvt_f32_f16_e32 v1, v1
	v_or_b32_e32 v0, v12, v0
	v_lshl_or_b32 v7, v5, 12, v3
	v_cmp_gt_i32_e32 vcc, 1, v5
	v_cndmask_b32_e32 v0, v7, v0, vcc
	v_and_b32_e32 v7, 7, v0
	v_cmp_lt_i32_e32 vcc, 5, v7
	v_cmp_eq_u32_e64 s[0:1], 3, v7
	v_lshrrev_b32_e32 v7, 2, v0
	v_cvt_f64_f32_e32 v[0:1], v1
	s_or_b64 vcc, s[0:1], vcc
	v_addc_co_u32_e32 v7, vcc, 0, v7, vcc
	v_mul_f64 v[0:1], v[0:1], s[8:9]
	v_cmp_gt_i32_e32 vcc, 31, v5
	v_cndmask_b32_e32 v7, v9, v7, vcc
	v_cmp_ne_u32_e32 vcc, 0, v3
	v_cndmask_b32_e64 v3, 0, 1, vcc
	v_lshl_or_b32 v3, v3, 9, v9
	v_cmp_eq_u32_e32 vcc, s10, v5
	v_cndmask_b32_e32 v3, v7, v3, vcc
	v_and_or_b32 v0, v1, s6, v0
	v_lshrrev_b32_e32 v4, 16, v4
	v_cmp_ne_u32_e32 vcc, 0, v0
	v_and_or_b32 v5, v4, s11, v3
	v_cndmask_b32_e64 v0, 0, 1, vcc
	v_lshrrev_b32_e32 v3, 8, v1
	v_bfe_u32 v4, v1, 20, 11
	v_and_or_b32 v0, v3, s7, v0
	v_sub_u32_e32 v7, 0x3f1, v4
	v_or_b32_e32 v3, 0x1000, v0
	v_med3_i32 v7, v7, 0, 13
	v_lshrrev_b32_e32 v12, v7, v3
	v_lshlrev_b32_e32 v7, v7, v12
	v_cmp_ne_u32_e32 vcc, v7, v3
	v_cndmask_b32_e64 v3, 0, 1, vcc
	v_add_u32_e32 v4, 0xfffffc10, v4
	v_or_b32_e32 v3, v12, v3
	v_lshl_or_b32 v7, v4, 12, v0
	v_cmp_gt_i32_e32 vcc, 1, v4
	v_cndmask_b32_e32 v3, v7, v3, vcc
	v_and_b32_e32 v7, 7, v3
	v_cmp_lt_i32_e32 vcc, 5, v7
	v_cmp_eq_u32_e64 s[0:1], 3, v7
	v_lshrrev_b32_e32 v7, 16, v6
	v_lshrrev_b32_e32 v3, 2, v3
	s_or_b64 vcc, s[0:1], vcc
	v_mul_f16_sdwa v12, v67, v7 dst_sel:DWORD dst_unused:UNUSED_PAD src0_sel:WORD_1 src1_sel:DWORD
	v_addc_co_u32_e32 v3, vcc, 0, v3, vcc
	v_fma_f16 v12, v67, v6, v12
	v_cmp_gt_i32_e32 vcc, 31, v4
	v_cvt_f32_f16_e32 v12, v12
	v_cndmask_b32_e32 v3, v9, v3, vcc
	v_cmp_ne_u32_e32 vcc, 0, v0
	v_cndmask_b32_e64 v0, 0, 1, vcc
	v_lshl_or_b32 v0, v0, 9, v9
	v_cmp_eq_u32_e32 vcc, s10, v4
	v_cndmask_b32_e32 v0, v3, v0, vcc
	v_cvt_f64_f32_e32 v[3:4], v12
	v_lshrrev_b32_e32 v1, 16, v1
	v_and_or_b32 v12, v1, s11, v0
	v_and_b32_e32 v5, 0xffff, v5
	v_mul_f64 v[0:1], v[3:4], s[8:9]
	v_mov_b32_e32 v4, s2
	v_add_co_u32_e32 v3, vcc, s3, v10
	v_addc_co_u32_e32 v4, vcc, v11, v4, vcc
	v_lshl_or_b32 v5, v12, 16, v5
	global_store_dword v[3:4], v5, off
	v_and_or_b32 v0, v1, s6, v0
	v_cmp_ne_u32_e32 vcc, 0, v0
	v_cndmask_b32_e64 v0, 0, 1, vcc
	v_lshrrev_b32_e32 v5, 8, v1
	v_bfe_u32 v10, v1, 20, 11
	v_and_or_b32 v0, v5, s7, v0
	v_sub_u32_e32 v11, 0x3f1, v10
	v_or_b32_e32 v5, 0x1000, v0
	v_med3_i32 v11, v11, 0, 13
	v_lshrrev_b32_e32 v12, v11, v5
	v_mul_f16_sdwa v6, v67, v6 dst_sel:DWORD dst_unused:UNUSED_PAD src0_sel:WORD_1 src1_sel:DWORD
	v_lshlrev_b32_e32 v11, v11, v12
	v_fma_f16 v6, v67, v7, -v6
	v_cmp_ne_u32_e32 vcc, v11, v5
	v_cvt_f32_f16_e32 v6, v6
	v_cndmask_b32_e64 v5, 0, 1, vcc
	v_add_u32_e32 v10, 0xfffffc10, v10
	v_or_b32_e32 v5, v12, v5
	v_lshl_or_b32 v11, v10, 12, v0
	v_cmp_gt_i32_e32 vcc, 1, v10
	v_cndmask_b32_e32 v5, v11, v5, vcc
	v_and_b32_e32 v11, 7, v5
	v_lshrrev_b32_e32 v7, 2, v5
	v_cvt_f64_f32_e32 v[5:6], v6
	v_cmp_lt_i32_e32 vcc, 5, v11
	v_cmp_eq_u32_e64 s[0:1], 3, v11
	s_or_b64 vcc, s[0:1], vcc
	v_mul_f64 v[5:6], v[5:6], s[8:9]
	v_addc_co_u32_e32 v7, vcc, 0, v7, vcc
	v_cmp_gt_i32_e32 vcc, 31, v10
	v_cndmask_b32_e32 v7, v9, v7, vcc
	v_cmp_ne_u32_e32 vcc, 0, v0
	v_cndmask_b32_e64 v0, 0, 1, vcc
	v_lshl_or_b32 v0, v0, 9, v9
	v_cmp_eq_u32_e32 vcc, s10, v10
	v_cndmask_b32_e32 v0, v7, v0, vcc
	v_lshrrev_b32_e32 v1, 16, v1
	v_and_or_b32 v7, v1, s11, v0
	v_and_or_b32 v0, v6, s6, v5
	v_cmp_ne_u32_e32 vcc, 0, v0
	v_cndmask_b32_e64 v0, 0, 1, vcc
	v_lshrrev_b32_e32 v1, 8, v6
	v_bfe_u32 v5, v6, 20, 11
	v_and_or_b32 v0, v1, s7, v0
	v_sub_u32_e32 v10, 0x3f1, v5
	v_or_b32_e32 v1, 0x1000, v0
	v_med3_i32 v10, v10, 0, 13
	v_lshrrev_b32_e32 v11, v10, v1
	v_lshlrev_b32_e32 v10, v10, v11
	v_cmp_ne_u32_e32 vcc, v10, v1
	v_cndmask_b32_e64 v1, 0, 1, vcc
	v_add_u32_e32 v5, 0xfffffc10, v5
	v_or_b32_e32 v1, v11, v1
	v_lshl_or_b32 v10, v5, 12, v0
	v_cmp_gt_i32_e32 vcc, 1, v5
	v_cndmask_b32_e32 v1, v10, v1, vcc
	v_and_b32_e32 v10, 7, v1
	v_cmp_lt_i32_e32 vcc, 5, v10
	v_cmp_eq_u32_e64 s[0:1], 3, v10
	v_lshrrev_b32_e32 v10, 16, v2
	v_lshrrev_b32_e32 v1, 2, v1
	s_or_b64 vcc, s[0:1], vcc
	v_mul_f16_sdwa v11, v66, v10 dst_sel:DWORD dst_unused:UNUSED_PAD src0_sel:WORD_1 src1_sel:DWORD
	v_addc_co_u32_e32 v1, vcc, 0, v1, vcc
	v_fma_f16 v11, v66, v2, v11
	v_cmp_gt_i32_e32 vcc, 31, v5
	v_cvt_f32_f16_e32 v11, v11
	v_cndmask_b32_e32 v1, v9, v1, vcc
	v_cmp_ne_u32_e32 vcc, 0, v0
	v_cndmask_b32_e64 v0, 0, 1, vcc
	v_lshl_or_b32 v0, v0, 9, v9
	v_cmp_eq_u32_e32 vcc, s10, v5
	v_cndmask_b32_e32 v5, v1, v0, vcc
	v_cvt_f64_f32_e32 v[0:1], v11
	v_lshrrev_b32_e32 v6, 16, v6
	v_and_or_b32 v5, v6, s11, v5
	v_and_b32_e32 v6, 0xffff, v7
	v_mul_f64 v[0:1], v[0:1], s[8:9]
	v_lshl_or_b32 v5, v5, 16, v6
	v_mov_b32_e32 v6, s2
	v_add_co_u32_e32 v3, vcc, s3, v3
	v_addc_co_u32_e32 v4, vcc, v4, v6, vcc
	global_store_dword v[3:4], v5, off
	v_and_or_b32 v0, v1, s6, v0
	v_cmp_ne_u32_e32 vcc, 0, v0
	v_cndmask_b32_e64 v0, 0, 1, vcc
	v_lshrrev_b32_e32 v5, 8, v1
	v_bfe_u32 v6, v1, 20, 11
	v_and_or_b32 v0, v5, s7, v0
	v_sub_u32_e32 v7, 0x3f1, v6
	v_or_b32_e32 v5, 0x1000, v0
	v_med3_i32 v7, v7, 0, 13
	v_lshrrev_b32_e32 v11, v7, v5
	v_lshlrev_b32_e32 v7, v7, v11
	v_mul_f16_sdwa v2, v66, v2 dst_sel:DWORD dst_unused:UNUSED_PAD src0_sel:WORD_1 src1_sel:DWORD
	v_cmp_ne_u32_e32 vcc, v7, v5
	v_fma_f16 v2, v66, v10, -v2
	v_cndmask_b32_e64 v5, 0, 1, vcc
	v_add_u32_e32 v7, 0xfffffc10, v6
	v_cvt_f32_f16_e32 v2, v2
	v_or_b32_e32 v5, v11, v5
	v_lshl_or_b32 v6, v7, 12, v0
	v_cmp_gt_i32_e32 vcc, 1, v7
	v_cndmask_b32_e32 v5, v6, v5, vcc
	v_and_b32_e32 v6, 7, v5
	v_cmp_lt_i32_e32 vcc, 5, v6
	v_cmp_eq_u32_e64 s[0:1], 3, v6
	v_lshrrev_b32_e32 v10, 2, v5
	v_cvt_f64_f32_e32 v[5:6], v2
	s_or_b64 vcc, s[0:1], vcc
	v_addc_co_u32_e32 v2, vcc, 0, v10, vcc
	v_mul_f64 v[5:6], v[5:6], s[8:9]
	v_cmp_gt_i32_e32 vcc, 31, v7
	v_cndmask_b32_e32 v2, v9, v2, vcc
	v_cmp_ne_u32_e32 vcc, 0, v0
	v_cndmask_b32_e64 v0, 0, 1, vcc
	v_lshl_or_b32 v0, v0, 9, v9
	v_cmp_eq_u32_e32 vcc, s10, v7
	v_cndmask_b32_e32 v0, v2, v0, vcc
	v_lshrrev_b32_e32 v1, 16, v1
	v_and_or_b32 v2, v1, s11, v0
	v_and_or_b32 v0, v6, s6, v5
	v_cmp_ne_u32_e32 vcc, 0, v0
	v_cndmask_b32_e64 v0, 0, 1, vcc
	v_lshrrev_b32_e32 v1, 8, v6
	v_bfe_u32 v5, v6, 20, 11
	v_and_or_b32 v0, v1, s7, v0
	v_sub_u32_e32 v7, 0x3f1, v5
	v_or_b32_e32 v1, 0x1000, v0
	v_med3_i32 v7, v7, 0, 13
	v_lshrrev_b32_e32 v10, v7, v1
	v_lshlrev_b32_e32 v7, v7, v10
	v_cmp_ne_u32_e32 vcc, v7, v1
	v_cndmask_b32_e64 v1, 0, 1, vcc
	v_add_u32_e32 v5, 0xfffffc10, v5
	v_or_b32_e32 v1, v10, v1
	v_lshl_or_b32 v7, v5, 12, v0
	v_cmp_gt_i32_e32 vcc, 1, v5
	v_cndmask_b32_e32 v1, v7, v1, vcc
	v_and_b32_e32 v7, 7, v1
	v_cmp_lt_i32_e32 vcc, 5, v7
	v_cmp_eq_u32_e64 s[0:1], 3, v7
	v_lshrrev_b32_e32 v7, 16, v8
	v_lshrrev_b32_e32 v1, 2, v1
	s_or_b64 vcc, s[0:1], vcc
	v_mul_f16_sdwa v10, v65, v7 dst_sel:DWORD dst_unused:UNUSED_PAD src0_sel:WORD_1 src1_sel:DWORD
	v_addc_co_u32_e32 v1, vcc, 0, v1, vcc
	v_fma_f16 v10, v65, v8, v10
	v_cmp_gt_i32_e32 vcc, 31, v5
	v_cvt_f32_f16_e32 v10, v10
	v_cndmask_b32_e32 v1, v9, v1, vcc
	v_cmp_ne_u32_e32 vcc, 0, v0
	v_cndmask_b32_e64 v0, 0, 1, vcc
	v_lshl_or_b32 v0, v0, 9, v9
	v_cmp_eq_u32_e32 vcc, s10, v5
	v_cndmask_b32_e32 v5, v1, v0, vcc
	v_cvt_f64_f32_e32 v[0:1], v10
	v_lshrrev_b32_e32 v6, 16, v6
	v_and_or_b32 v5, v6, s11, v5
	v_and_b32_e32 v2, 0xffff, v2
	v_mul_f64 v[0:1], v[0:1], s[8:9]
	v_lshl_or_b32 v5, v5, 16, v2
	v_mov_b32_e32 v6, s2
	v_add_co_u32_e32 v2, vcc, s3, v3
	v_addc_co_u32_e32 v3, vcc, v4, v6, vcc
	global_store_dword v[2:3], v5, off
	v_and_or_b32 v0, v1, s6, v0
	v_cmp_ne_u32_e32 vcc, 0, v0
	v_cndmask_b32_e64 v0, 0, 1, vcc
	v_lshrrev_b32_e32 v4, 8, v1
	v_bfe_u32 v5, v1, 20, 11
	v_and_or_b32 v0, v4, s7, v0
	v_sub_u32_e32 v6, 0x3f1, v5
	v_or_b32_e32 v4, 0x1000, v0
	v_med3_i32 v6, v6, 0, 13
	v_lshrrev_b32_e32 v10, v6, v4
	v_lshlrev_b32_e32 v6, v6, v10
	v_mul_f16_sdwa v8, v65, v8 dst_sel:DWORD dst_unused:UNUSED_PAD src0_sel:WORD_1 src1_sel:DWORD
	v_cmp_ne_u32_e32 vcc, v6, v4
	v_fma_f16 v7, v65, v7, -v8
	v_cndmask_b32_e64 v4, 0, 1, vcc
	v_add_u32_e32 v6, 0xfffffc10, v5
	v_cvt_f32_f16_e32 v7, v7
	v_or_b32_e32 v4, v10, v4
	v_lshl_or_b32 v5, v6, 12, v0
	v_cmp_gt_i32_e32 vcc, 1, v6
	v_cndmask_b32_e32 v4, v5, v4, vcc
	v_and_b32_e32 v5, 7, v4
	v_cmp_lt_i32_e32 vcc, 5, v5
	v_cmp_eq_u32_e64 s[0:1], 3, v5
	v_lshrrev_b32_e32 v8, 2, v4
	v_cvt_f64_f32_e32 v[4:5], v7
	s_or_b64 vcc, s[0:1], vcc
	v_addc_co_u32_e32 v7, vcc, 0, v8, vcc
	v_mul_f64 v[4:5], v[4:5], s[8:9]
	v_cmp_gt_i32_e32 vcc, 31, v6
	v_cndmask_b32_e32 v7, v9, v7, vcc
	v_cmp_ne_u32_e32 vcc, 0, v0
	v_cndmask_b32_e64 v0, 0, 1, vcc
	v_lshl_or_b32 v0, v0, 9, v9
	v_cmp_eq_u32_e32 vcc, s10, v6
	v_cndmask_b32_e32 v0, v7, v0, vcc
	v_lshrrev_b32_e32 v1, 16, v1
	v_and_or_b32 v0, v1, s11, v0
	v_and_or_b32 v1, v5, s6, v4
	v_cmp_ne_u32_e32 vcc, 0, v1
	v_cndmask_b32_e64 v1, 0, 1, vcc
	v_lshrrev_b32_e32 v4, 8, v5
	v_bfe_u32 v6, v5, 20, 11
	v_and_or_b32 v1, v4, s7, v1
	v_sub_u32_e32 v7, 0x3f1, v6
	v_or_b32_e32 v4, 0x1000, v1
	v_med3_i32 v7, v7, 0, 13
	v_lshrrev_b32_e32 v8, v7, v4
	v_lshlrev_b32_e32 v7, v7, v8
	v_cmp_ne_u32_e32 vcc, v7, v4
	v_cndmask_b32_e64 v4, 0, 1, vcc
	v_add_u32_e32 v6, 0xfffffc10, v6
	v_or_b32_e32 v4, v8, v4
	v_lshl_or_b32 v7, v6, 12, v1
	v_cmp_gt_i32_e32 vcc, 1, v6
	v_cndmask_b32_e32 v4, v7, v4, vcc
	v_and_b32_e32 v7, 7, v4
	v_cmp_lt_i32_e32 vcc, 5, v7
	v_cmp_eq_u32_e64 s[0:1], 3, v7
	v_lshrrev_b32_e32 v4, 2, v4
	s_or_b64 vcc, s[0:1], vcc
	v_addc_co_u32_e32 v4, vcc, 0, v4, vcc
	v_cmp_gt_i32_e32 vcc, 31, v6
	v_cndmask_b32_e32 v4, v9, v4, vcc
	v_cmp_ne_u32_e32 vcc, 0, v1
	v_cndmask_b32_e64 v1, 0, 1, vcc
	v_lshl_or_b32 v1, v1, 9, v9
	v_cmp_eq_u32_e32 vcc, s10, v6
	v_cndmask_b32_e32 v1, v4, v1, vcc
	v_lshrrev_b32_e32 v4, 16, v5
	v_and_or_b32 v1, v4, s11, v1
	v_and_b32_e32 v0, 0xffff, v0
	v_lshl_or_b32 v4, v1, 16, v0
	v_mov_b32_e32 v1, s2
	v_add_co_u32_e32 v0, vcc, s3, v2
	v_addc_co_u32_e32 v1, vcc, v3, v1, vcc
	global_store_dword v[0:1], v4, off
.LBB0_10:
	s_endpgm
	.section	.rodata,"a",@progbits
	.p2align	6, 0x0
	.amdhsa_kernel bluestein_single_back_len1188_dim1_half_op_CI_CI
		.amdhsa_group_segment_fixed_size 14256
		.amdhsa_private_segment_fixed_size 0
		.amdhsa_kernarg_size 104
		.amdhsa_user_sgpr_count 6
		.amdhsa_user_sgpr_private_segment_buffer 1
		.amdhsa_user_sgpr_dispatch_ptr 0
		.amdhsa_user_sgpr_queue_ptr 0
		.amdhsa_user_sgpr_kernarg_segment_ptr 1
		.amdhsa_user_sgpr_dispatch_id 0
		.amdhsa_user_sgpr_flat_scratch_init 0
		.amdhsa_user_sgpr_private_segment_size 0
		.amdhsa_uses_dynamic_stack 0
		.amdhsa_system_sgpr_private_segment_wavefront_offset 0
		.amdhsa_system_sgpr_workgroup_id_x 1
		.amdhsa_system_sgpr_workgroup_id_y 0
		.amdhsa_system_sgpr_workgroup_id_z 0
		.amdhsa_system_sgpr_workgroup_info 0
		.amdhsa_system_vgpr_workitem_id 0
		.amdhsa_next_free_vgpr 185
		.amdhsa_next_free_sgpr 28
		.amdhsa_reserve_vcc 1
		.amdhsa_reserve_flat_scratch 0
		.amdhsa_float_round_mode_32 0
		.amdhsa_float_round_mode_16_64 0
		.amdhsa_float_denorm_mode_32 3
		.amdhsa_float_denorm_mode_16_64 3
		.amdhsa_dx10_clamp 1
		.amdhsa_ieee_mode 1
		.amdhsa_fp16_overflow 0
		.amdhsa_exception_fp_ieee_invalid_op 0
		.amdhsa_exception_fp_denorm_src 0
		.amdhsa_exception_fp_ieee_div_zero 0
		.amdhsa_exception_fp_ieee_overflow 0
		.amdhsa_exception_fp_ieee_underflow 0
		.amdhsa_exception_fp_ieee_inexact 0
		.amdhsa_exception_int_div_zero 0
	.end_amdhsa_kernel
	.text
.Lfunc_end0:
	.size	bluestein_single_back_len1188_dim1_half_op_CI_CI, .Lfunc_end0-bluestein_single_back_len1188_dim1_half_op_CI_CI
                                        ; -- End function
	.section	.AMDGPU.csdata,"",@progbits
; Kernel info:
; codeLenInByte = 31888
; NumSgprs: 32
; NumVgprs: 185
; ScratchSize: 0
; MemoryBound: 0
; FloatMode: 240
; IeeeMode: 1
; LDSByteSize: 14256 bytes/workgroup (compile time only)
; SGPRBlocks: 3
; VGPRBlocks: 46
; NumSGPRsForWavesPerEU: 32
; NumVGPRsForWavesPerEU: 185
; Occupancy: 1
; WaveLimiterHint : 1
; COMPUTE_PGM_RSRC2:SCRATCH_EN: 0
; COMPUTE_PGM_RSRC2:USER_SGPR: 6
; COMPUTE_PGM_RSRC2:TRAP_HANDLER: 0
; COMPUTE_PGM_RSRC2:TGID_X_EN: 1
; COMPUTE_PGM_RSRC2:TGID_Y_EN: 0
; COMPUTE_PGM_RSRC2:TGID_Z_EN: 0
; COMPUTE_PGM_RSRC2:TIDIG_COMP_CNT: 0
	.type	__hip_cuid_20eb2dbdb50d5160,@object ; @__hip_cuid_20eb2dbdb50d5160
	.section	.bss,"aw",@nobits
	.globl	__hip_cuid_20eb2dbdb50d5160
__hip_cuid_20eb2dbdb50d5160:
	.byte	0                               ; 0x0
	.size	__hip_cuid_20eb2dbdb50d5160, 1

	.ident	"AMD clang version 19.0.0git (https://github.com/RadeonOpenCompute/llvm-project roc-6.4.0 25133 c7fe45cf4b819c5991fe208aaa96edf142730f1d)"
	.section	".note.GNU-stack","",@progbits
	.addrsig
	.addrsig_sym __hip_cuid_20eb2dbdb50d5160
	.amdgpu_metadata
---
amdhsa.kernels:
  - .args:
      - .actual_access:  read_only
        .address_space:  global
        .offset:         0
        .size:           8
        .value_kind:     global_buffer
      - .actual_access:  read_only
        .address_space:  global
        .offset:         8
        .size:           8
        .value_kind:     global_buffer
      - .actual_access:  read_only
        .address_space:  global
        .offset:         16
        .size:           8
        .value_kind:     global_buffer
      - .actual_access:  read_only
        .address_space:  global
        .offset:         24
        .size:           8
        .value_kind:     global_buffer
      - .actual_access:  read_only
        .address_space:  global
        .offset:         32
        .size:           8
        .value_kind:     global_buffer
      - .offset:         40
        .size:           8
        .value_kind:     by_value
      - .address_space:  global
        .offset:         48
        .size:           8
        .value_kind:     global_buffer
      - .address_space:  global
        .offset:         56
        .size:           8
        .value_kind:     global_buffer
      - .address_space:  global
        .offset:         64
        .size:           8
        .value_kind:     global_buffer
      - .address_space:  global
        .offset:         72
        .size:           8
        .value_kind:     global_buffer
      - .offset:         80
        .size:           4
        .value_kind:     by_value
      - .address_space:  global
        .offset:         88
        .size:           8
        .value_kind:     global_buffer
      - .address_space:  global
        .offset:         96
        .size:           8
        .value_kind:     global_buffer
    .group_segment_fixed_size: 14256
    .kernarg_segment_align: 8
    .kernarg_segment_size: 104
    .language:       OpenCL C
    .language_version:
      - 2
      - 0
    .max_flat_workgroup_size: 198
    .name:           bluestein_single_back_len1188_dim1_half_op_CI_CI
    .private_segment_fixed_size: 0
    .sgpr_count:     32
    .sgpr_spill_count: 0
    .symbol:         bluestein_single_back_len1188_dim1_half_op_CI_CI.kd
    .uniform_work_group_size: 1
    .uses_dynamic_stack: false
    .vgpr_count:     185
    .vgpr_spill_count: 0
    .wavefront_size: 64
amdhsa.target:   amdgcn-amd-amdhsa--gfx906
amdhsa.version:
  - 1
  - 2
...

	.end_amdgpu_metadata
